;; amdgpu-corpus repo=ROCm/rocBLAS kind=compiled arch=gfx906 opt=O3
	.amdgcn_target "amdgcn-amd-amdhsa--gfx906"
	.amdhsa_code_object_version 6
	.section	.text._ZL25rocblas_symm_scale_kernelILi128ELi8EPKfPfEviiT1_T2_llli,"axG",@progbits,_ZL25rocblas_symm_scale_kernelILi128ELi8EPKfPfEviiT1_T2_llli,comdat
	.globl	_ZL25rocblas_symm_scale_kernelILi128ELi8EPKfPfEviiT1_T2_llli ; -- Begin function _ZL25rocblas_symm_scale_kernelILi128ELi8EPKfPfEviiT1_T2_llli
	.p2align	8
	.type	_ZL25rocblas_symm_scale_kernelILi128ELi8EPKfPfEviiT1_T2_llli,@function
_ZL25rocblas_symm_scale_kernelILi128ELi8EPKfPfEviiT1_T2_llli: ; @_ZL25rocblas_symm_scale_kernelILi128ELi8EPKfPfEviiT1_T2_llli
; %bb.0:
	s_load_dwordx8 s[12:19], s[4:5], 0x8
	s_waitcnt lgkmcnt(0)
	s_load_dword s9, s[12:13], 0x0
	s_waitcnt lgkmcnt(0)
	v_cmp_eq_f32_e64 s[0:1], s9, 1.0
	s_and_b64 vcc, exec, s[0:1]
	s_cbranch_vccnz .LBB0_7
; %bb.1:
	s_load_dwordx2 s[0:1], s[4:5], 0x0
	v_lshl_add_u32 v2, s6, 7, v0
	v_lshl_add_u32 v0, s7, 3, v1
	v_mov_b32_e32 v1, 0
	s_waitcnt lgkmcnt(0)
	s_ashr_i32 s3, s1, 31
	s_mov_b32 s2, s1
	v_cmp_gt_i64_e32 vcc, s[2:3], v[0:1]
	v_cmp_gt_u32_e64 s[0:1], s0, v2
	s_and_b64 s[0:1], s[0:1], vcc
	s_and_saveexec_b64 s[6:7], s[0:1]
	s_cbranch_execz .LBB0_7
; %bb.2:
	s_load_dword s6, s[4:5], 0x3c
	s_load_dwordx2 s[0:1], s[4:5], 0x28
	v_mad_u64_u32 v[4:5], s[4:5], s18, v0, 0
	v_mov_b32_e32 v3, v1
	s_waitcnt lgkmcnt(0)
	s_lshl_b32 s10, s6, 3
	v_mad_u64_u32 v[5:6], s[4:5], s19, v0, v[5:6]
	s_mul_i32 s1, s1, s8
	s_mul_hi_u32 s6, s0, s8
	s_add_i32 s1, s6, s1
	s_mul_i32 s0, s0, s8
	s_lshl_b64 s[0:1], s[0:1], 2
	s_lshl_b64 s[4:5], s[16:17], 2
	v_lshlrev_b64 v[4:5], 2, v[4:5]
	s_add_u32 s0, s4, s0
	s_addc_u32 s1, s5, s1
	v_mov_b32_e32 v6, s1
	v_add_co_u32_e32 v4, vcc, s0, v4
	v_lshlrev_b64 v[2:3], 2, v[2:3]
	v_addc_co_u32_e32 v5, vcc, v6, v5, vcc
	v_add_co_u32_e32 v2, vcc, v4, v2
	s_mul_i32 s0, s19, s10
	s_mul_hi_u32 s1, s18, s10
	v_addc_co_u32_e32 v3, vcc, v5, v3, vcc
	s_add_i32 s1, s1, s0
	s_mul_i32 s0, s18, s10
	v_mov_b32_e32 v4, s15
	v_add_co_u32_e32 v2, vcc, s14, v2
	s_lshl_b64 s[4:5], s[0:1], 2
	v_cmp_neq_f32_e64 s[0:1], s9, 0
	v_addc_co_u32_e32 v3, vcc, v4, v3, vcc
	v_cndmask_b32_e64 v4, 0, 1, s[0:1]
	s_mov_b64 s[6:7], 0
	v_cmp_ne_u32_e64 s[0:1], 1, v4
	v_mov_b32_e32 v4, s5
	s_branch .LBB0_5
.LBB0_3:                                ;   in Loop: Header=BB0_5 Depth=1
	global_load_dword v5, v[2:3], off
	s_waitcnt vmcnt(0)
	v_mul_f32_e32 v5, s9, v5
.LBB0_4:                                ;   in Loop: Header=BB0_5 Depth=1
	v_add_co_u32_e32 v0, vcc, s10, v0
	v_addc_co_u32_e32 v1, vcc, 0, v1, vcc
	v_cmp_le_i64_e32 vcc, s[2:3], v[0:1]
	global_store_dword v[2:3], v5, off
	s_or_b64 s[6:7], vcc, s[6:7]
	v_add_co_u32_e32 v2, vcc, s4, v2
	v_addc_co_u32_e32 v3, vcc, v3, v4, vcc
	s_andn2_b64 exec, exec, s[6:7]
	s_cbranch_execz .LBB0_7
.LBB0_5:                                ; =>This Inner Loop Header: Depth=1
	s_and_b64 vcc, exec, s[0:1]
	s_cbranch_vccz .LBB0_3
; %bb.6:                                ;   in Loop: Header=BB0_5 Depth=1
	v_mov_b32_e32 v5, 0
	s_branch .LBB0_4
.LBB0_7:
	s_endpgm
	.section	.rodata,"a",@progbits
	.p2align	6, 0x0
	.amdhsa_kernel _ZL25rocblas_symm_scale_kernelILi128ELi8EPKfPfEviiT1_T2_llli
		.amdhsa_group_segment_fixed_size 0
		.amdhsa_private_segment_fixed_size 0
		.amdhsa_kernarg_size 312
		.amdhsa_user_sgpr_count 6
		.amdhsa_user_sgpr_private_segment_buffer 1
		.amdhsa_user_sgpr_dispatch_ptr 0
		.amdhsa_user_sgpr_queue_ptr 0
		.amdhsa_user_sgpr_kernarg_segment_ptr 1
		.amdhsa_user_sgpr_dispatch_id 0
		.amdhsa_user_sgpr_flat_scratch_init 0
		.amdhsa_user_sgpr_private_segment_size 0
		.amdhsa_uses_dynamic_stack 0
		.amdhsa_system_sgpr_private_segment_wavefront_offset 0
		.amdhsa_system_sgpr_workgroup_id_x 1
		.amdhsa_system_sgpr_workgroup_id_y 1
		.amdhsa_system_sgpr_workgroup_id_z 1
		.amdhsa_system_sgpr_workgroup_info 0
		.amdhsa_system_vgpr_workitem_id 1
		.amdhsa_next_free_vgpr 7
		.amdhsa_next_free_sgpr 20
		.amdhsa_reserve_vcc 1
		.amdhsa_reserve_flat_scratch 0
		.amdhsa_float_round_mode_32 0
		.amdhsa_float_round_mode_16_64 0
		.amdhsa_float_denorm_mode_32 3
		.amdhsa_float_denorm_mode_16_64 3
		.amdhsa_dx10_clamp 1
		.amdhsa_ieee_mode 1
		.amdhsa_fp16_overflow 0
		.amdhsa_exception_fp_ieee_invalid_op 0
		.amdhsa_exception_fp_denorm_src 0
		.amdhsa_exception_fp_ieee_div_zero 0
		.amdhsa_exception_fp_ieee_overflow 0
		.amdhsa_exception_fp_ieee_underflow 0
		.amdhsa_exception_fp_ieee_inexact 0
		.amdhsa_exception_int_div_zero 0
	.end_amdhsa_kernel
	.section	.text._ZL25rocblas_symm_scale_kernelILi128ELi8EPKfPfEviiT1_T2_llli,"axG",@progbits,_ZL25rocblas_symm_scale_kernelILi128ELi8EPKfPfEviiT1_T2_llli,comdat
.Lfunc_end0:
	.size	_ZL25rocblas_symm_scale_kernelILi128ELi8EPKfPfEviiT1_T2_llli, .Lfunc_end0-_ZL25rocblas_symm_scale_kernelILi128ELi8EPKfPfEviiT1_T2_llli
                                        ; -- End function
	.set _ZL25rocblas_symm_scale_kernelILi128ELi8EPKfPfEviiT1_T2_llli.num_vgpr, 7
	.set _ZL25rocblas_symm_scale_kernelILi128ELi8EPKfPfEviiT1_T2_llli.num_agpr, 0
	.set _ZL25rocblas_symm_scale_kernelILi128ELi8EPKfPfEviiT1_T2_llli.numbered_sgpr, 20
	.set _ZL25rocblas_symm_scale_kernelILi128ELi8EPKfPfEviiT1_T2_llli.num_named_barrier, 0
	.set _ZL25rocblas_symm_scale_kernelILi128ELi8EPKfPfEviiT1_T2_llli.private_seg_size, 0
	.set _ZL25rocblas_symm_scale_kernelILi128ELi8EPKfPfEviiT1_T2_llli.uses_vcc, 1
	.set _ZL25rocblas_symm_scale_kernelILi128ELi8EPKfPfEviiT1_T2_llli.uses_flat_scratch, 0
	.set _ZL25rocblas_symm_scale_kernelILi128ELi8EPKfPfEviiT1_T2_llli.has_dyn_sized_stack, 0
	.set _ZL25rocblas_symm_scale_kernelILi128ELi8EPKfPfEviiT1_T2_llli.has_recursion, 0
	.set _ZL25rocblas_symm_scale_kernelILi128ELi8EPKfPfEviiT1_T2_llli.has_indirect_call, 0
	.section	.AMDGPU.csdata,"",@progbits
; Kernel info:
; codeLenInByte = 360
; TotalNumSgprs: 24
; NumVgprs: 7
; ScratchSize: 0
; MemoryBound: 0
; FloatMode: 240
; IeeeMode: 1
; LDSByteSize: 0 bytes/workgroup (compile time only)
; SGPRBlocks: 2
; VGPRBlocks: 1
; NumSGPRsForWavesPerEU: 24
; NumVGPRsForWavesPerEU: 7
; Occupancy: 10
; WaveLimiterHint : 0
; COMPUTE_PGM_RSRC2:SCRATCH_EN: 0
; COMPUTE_PGM_RSRC2:USER_SGPR: 6
; COMPUTE_PGM_RSRC2:TRAP_HANDLER: 0
; COMPUTE_PGM_RSRC2:TGID_X_EN: 1
; COMPUTE_PGM_RSRC2:TGID_Y_EN: 1
; COMPUTE_PGM_RSRC2:TGID_Z_EN: 1
; COMPUTE_PGM_RSRC2:TIDIG_COMP_CNT: 1
	.section	.text._ZL24rocblas_symm_hemm_kernelILb0ELb0ELi32EPKfS1_PfEvbiiT2_T3_lllS4_lllT4_llli,"axG",@progbits,_ZL24rocblas_symm_hemm_kernelILb0ELb0ELi32EPKfS1_PfEvbiiT2_T3_lllS4_lllT4_llli,comdat
	.globl	_ZL24rocblas_symm_hemm_kernelILb0ELb0ELi32EPKfS1_PfEvbiiT2_T3_lllS4_lllT4_llli ; -- Begin function _ZL24rocblas_symm_hemm_kernelILb0ELb0ELi32EPKfS1_PfEvbiiT2_T3_lllS4_lllT4_llli
	.p2align	8
	.type	_ZL24rocblas_symm_hemm_kernelILb0ELb0ELi32EPKfS1_PfEvbiiT2_T3_lllS4_lllT4_llli,@function
_ZL24rocblas_symm_hemm_kernelILb0ELb0ELi32EPKfS1_PfEvbiiT2_T3_lllS4_lllT4_llli: ; @_ZL24rocblas_symm_hemm_kernelILb0ELb0ELi32EPKfS1_PfEvbiiT2_T3_lllS4_lllT4_llli
; %bb.0:
	s_load_dwordx16 s[12:27], s[4:5], 0x10
	s_waitcnt lgkmcnt(0)
	s_load_dword s33, s[12:13], 0x0
	s_waitcnt lgkmcnt(0)
	v_cmp_eq_f32_e64 s[0:1], s33, 0
	s_and_b64 vcc, exec, s[0:1]
	s_cbranch_vccnz .LBB1_13
; %bb.1:
	s_load_dwordx4 s[28:31], s[4:5], 0x0
	s_waitcnt lgkmcnt(0)
	s_add_i32 s0, s30, -1
	s_ashr_i32 s1, s0, 31
	s_lshr_b32 s1, s1, 27
	s_add_i32 s0, s0, s1
	s_ashr_i32 s31, s0, 5
	s_cmp_gt_i32 s7, s31
	s_cbranch_scc1 .LBB1_13
; %bb.2:
	s_mul_i32 s0, s21, s8
	s_mul_hi_u32 s1, s20, s8
	s_add_i32 s1, s1, s0
	s_mul_i32 s0, s20, s8
	s_load_dwordx8 s[36:43], s[4:5], 0x50
	s_load_dwordx2 s[2:3], s[4:5], 0x70
	s_lshl_b64 s[0:1], s[0:1], 2
	s_add_u32 s9, s14, s0
	s_addc_u32 s10, s15, s1
	s_lshl_b64 s[0:1], s[16:17], 2
	s_add_u32 s14, s9, s0
	s_addc_u32 s15, s10, s1
	s_waitcnt lgkmcnt(0)
	s_mul_i32 s0, s37, s8
	s_mul_hi_u32 s1, s36, s8
	s_add_i32 s1, s1, s0
	s_mul_i32 s0, s36, s8
	s_lshl_b64 s[0:1], s[0:1], 2
	s_add_u32 s9, s22, s0
	s_addc_u32 s10, s23, s1
	s_lshl_b64 s[0:1], s[24:25], 2
	s_add_u32 s16, s9, s0
	s_addc_u32 s17, s10, s1
	s_bitcmp1_b32 s28, 0
	s_load_dword s20, s[4:5], 0x84
	s_mul_i32 s3, s3, s8
	s_mul_hi_u32 s4, s2, s8
	s_cselect_b64 s[0:1], -1, 0
	s_add_i32 s3, s4, s3
	s_mul_i32 s2, s2, s8
	s_lshl_b64 s[2:3], s[2:3], 2
	s_add_u32 s4, s38, s2
	s_addc_u32 s5, s39, s3
	s_lshl_b64 s[2:3], s[40:41], 2
	v_lshl_add_u32 v2, s6, 5, v0
	v_lshlrev_b32_e32 v7, 7, v0
	v_lshlrev_b32_e32 v3, 2, v1
	s_add_u32 s4, s4, s2
	v_add_u32_e32 v8, v7, v3
	v_or_b32_e32 v9, 0x1000, v3
	v_ashrrev_i32_e32 v3, 31, v2
	s_addc_u32 s5, s5, s3
	v_lshlrev_b64 v[3:4], 2, v[2:3]
	s_cmp_gt_i32 s29, 0
	v_mov_b32_e32 v5, s5
	v_add_co_u32_e32 v11, vcc, s4, v3
	s_cselect_b64 s[4:5], -1, 0
	v_cndmask_b32_e64 v3, 0, 1, s[4:5]
	v_add_u32_e32 v10, v9, v7
	v_cmp_gt_i32_e64 s[2:3], s29, v2
	v_addc_co_u32_e32 v12, vcc, v5, v4, vcc
	v_cmp_ne_u32_e64 s[4:5], 1, v3
	v_add_u32_e32 v13, 0x400, v9
	v_add_u32_e32 v14, 0x800, v9
	v_add_u32_e32 v15, 0xc00, v9
	s_branch .LBB1_4
.LBB1_3:                                ;   in Loop: Header=BB1_4 Depth=1
	s_waitcnt lgkmcnt(0)
	s_add_i32 s7, s7, s20
	s_cmp_gt_i32 s7, s31
	s_cbranch_scc1 .LBB1_13
.LBB1_4:                                ; =>This Loop Header: Depth=1
                                        ;     Child Loop BB1_7 Depth 2
	s_and_b64 vcc, exec, s[4:5]
	s_cbranch_vccnz .LBB1_3
; %bb.5:                                ;   in Loop: Header=BB1_4 Depth=1
	v_lshl_add_u32 v5, s7, 5, v1
	v_ashrrev_i32_e32 v6, 31, v5
	v_mul_lo_u32 v16, s26, v6
	v_mul_lo_u32 v17, s27, v5
	v_mad_u64_u32 v[3:4], s[8:9], s26, v5, 0
	v_cmp_gt_i32_e32 vcc, s30, v5
	v_mul_lo_u32 v18, s42, v6
	v_mul_lo_u32 v19, s43, v5
	v_mad_u64_u32 v[5:6], s[8:9], s42, v5, 0
	v_add3_u32 v4, v4, v16, v17
	v_lshlrev_b64 v[3:4], 2, v[3:4]
	v_mov_b32_e32 v17, s17
	v_add_co_u32_e64 v16, s[8:9], s16, v3
	v_add3_u32 v6, v6, v18, v19
	v_addc_co_u32_e64 v17, s[8:9], v17, v4, s[8:9]
	v_lshlrev_b64 v[3:4], 2, v[5:6]
	s_and_b64 s[10:11], s[2:3], vcc
	v_add_co_u32_e64 v3, s[8:9], v11, v3
	v_addc_co_u32_e64 v4, s[8:9], v12, v4, s[8:9]
	s_mov_b32 s6, 0
	s_branch .LBB1_7
.LBB1_6:                                ;   in Loop: Header=BB1_7 Depth=2
	s_or_b64 exec, exec, s[8:9]
	s_add_i32 s6, s6, 32
	s_cmp_ge_i32 s6, s29
	s_waitcnt vmcnt(0)
	s_barrier
	s_cbranch_scc1 .LBB1_3
.LBB1_7:                                ;   Parent Loop BB1_4 Depth=1
                                        ; =>  This Inner Loop Header: Depth=2
	v_add_u32_e32 v6, s6, v1
	v_cndmask_b32_e64 v5, v6, v2, s[0:1]
	v_cndmask_b32_e64 v18, v2, v6, s[0:1]
	v_cmp_gt_i32_e64 s[8:9], v5, v18
	v_cndmask_b32_e64 v5, v2, v6, s[8:9]
	v_cndmask_b32_e64 v6, v6, v2, s[8:9]
	v_max_i32_e32 v18, v5, v6
	v_cmp_gt_i32_e64 s[8:9], s29, v18
	v_mov_b32_e32 v18, 0
	v_mov_b32_e32 v19, 0
	s_and_saveexec_b64 s[12:13], s[8:9]
	s_cbranch_execz .LBB1_9
; %bb.8:                                ;   in Loop: Header=BB1_7 Depth=2
	v_ashrrev_i32_e32 v21, 31, v6
	v_mul_lo_u32 v22, s19, v6
	v_mad_u64_u32 v[19:20], s[8:9], s18, v6, 0
	v_mul_lo_u32 v6, s18, v21
	v_mov_b32_e32 v21, s15
	v_add3_u32 v20, v20, v6, v22
	v_lshlrev_b64 v[19:20], 2, v[19:20]
	v_ashrrev_i32_e32 v6, 31, v5
	v_add_co_u32_e64 v19, s[8:9], s14, v19
	v_lshlrev_b64 v[5:6], 2, v[5:6]
	v_addc_co_u32_e64 v20, s[8:9], v21, v20, s[8:9]
	v_add_co_u32_e64 v5, s[8:9], v19, v5
	v_addc_co_u32_e64 v6, s[8:9], v20, v6, s[8:9]
	global_load_dword v19, v[5:6], off
.LBB1_9:                                ;   in Loop: Header=BB1_7 Depth=2
	s_or_b64 exec, exec, s[12:13]
	v_add_u32_e32 v5, s6, v0
	v_cmp_gt_i32_e64 s[8:9], s29, v5
	s_and_b64 s[8:9], s[8:9], vcc
	s_waitcnt vmcnt(0)
	ds_write_b32 v8, v19
	s_and_saveexec_b64 s[12:13], s[8:9]
	s_cbranch_execz .LBB1_11
; %bb.10:                               ;   in Loop: Header=BB1_7 Depth=2
	v_ashrrev_i32_e32 v6, 31, v5
	v_lshlrev_b64 v[5:6], 2, v[5:6]
	v_add_co_u32_e64 v5, s[8:9], v16, v5
	v_addc_co_u32_e64 v6, s[8:9], v17, v6, s[8:9]
	global_load_dword v18, v[5:6], off
.LBB1_11:                               ;   in Loop: Header=BB1_7 Depth=2
	s_or_b64 exec, exec, s[12:13]
	s_waitcnt vmcnt(0)
	ds_write_b32 v10, v18
	s_waitcnt lgkmcnt(0)
	s_barrier
	s_and_saveexec_b64 s[8:9], s[10:11]
	s_cbranch_execz .LBB1_6
; %bb.12:                               ;   in Loop: Header=BB1_7 Depth=2
	global_load_dword v28, v[3:4], off
	ds_read_b128 v[18:21], v7
	ds_read2_b32 v[5:6], v9 offset1:32
	ds_read2_b32 v[26:27], v9 offset0:64 offset1:96
	ds_read_b128 v[22:25], v7 offset:16
	s_waitcnt lgkmcnt(2)
	v_fma_f32 v29, v18, v5, 0
	v_fmac_f32_e32 v29, v19, v6
	ds_read2_b32 v[5:6], v9 offset0:128 offset1:160
	s_waitcnt lgkmcnt(2)
	v_fmac_f32_e32 v29, v20, v26
	v_fmac_f32_e32 v29, v21, v27
	ds_read2_b32 v[26:27], v9 offset0:192 offset1:224
	ds_read_b128 v[18:21], v7 offset:32
	s_waitcnt lgkmcnt(2)
	v_fmac_f32_e32 v29, v22, v5
	v_fmac_f32_e32 v29, v23, v6
	ds_read2_b32 v[5:6], v13 offset1:32
	s_waitcnt lgkmcnt(2)
	v_fmac_f32_e32 v29, v24, v26
	v_fmac_f32_e32 v29, v25, v27
	ds_read_b128 v[22:25], v7 offset:48
	ds_read2_b32 v[26:27], v13 offset0:64 offset1:96
	s_waitcnt lgkmcnt(2)
	v_fmac_f32_e32 v29, v18, v5
	v_fmac_f32_e32 v29, v19, v6
	ds_read2_b32 v[5:6], v13 offset0:128 offset1:160
	s_waitcnt lgkmcnt(1)
	v_fmac_f32_e32 v29, v20, v26
	v_fmac_f32_e32 v29, v21, v27
	;; [unrolled: 4-line block ×3, first 2 shown]
	ds_read_b128 v[18:21], v7 offset:64
	ds_read2_b32 v[5:6], v14 offset1:32
	s_waitcnt lgkmcnt(2)
	v_fmac_f32_e32 v29, v24, v26
	v_fmac_f32_e32 v29, v25, v27
	ds_read2_b32 v[26:27], v14 offset0:64 offset1:96
	ds_read_b128 v[22:25], v7 offset:80
	s_waitcnt lgkmcnt(2)
	v_fmac_f32_e32 v29, v18, v5
	v_fmac_f32_e32 v29, v19, v6
	ds_read2_b32 v[5:6], v14 offset0:128 offset1:160
	s_waitcnt lgkmcnt(2)
	v_fmac_f32_e32 v29, v20, v26
	v_fmac_f32_e32 v29, v21, v27
	ds_read2_b32 v[26:27], v14 offset0:192 offset1:224
	s_waitcnt lgkmcnt(1)
	v_fmac_f32_e32 v29, v22, v5
	v_fmac_f32_e32 v29, v23, v6
	ds_read_b128 v[18:21], v7 offset:96
	ds_read2_b32 v[5:6], v15 offset1:32
	s_waitcnt lgkmcnt(2)
	v_fmac_f32_e32 v29, v24, v26
	v_fmac_f32_e32 v29, v25, v27
	ds_read2_b32 v[26:27], v15 offset0:64 offset1:96
	ds_read_b128 v[22:25], v7 offset:112
	s_waitcnt lgkmcnt(2)
	v_fmac_f32_e32 v29, v18, v5
	v_fmac_f32_e32 v29, v19, v6
	ds_read2_b32 v[5:6], v15 offset0:128 offset1:160
	ds_read2_b32 v[18:19], v15 offset0:192 offset1:224
	s_waitcnt lgkmcnt(3)
	v_fmac_f32_e32 v29, v20, v26
	v_fmac_f32_e32 v29, v21, v27
	s_waitcnt lgkmcnt(1)
	v_fmac_f32_e32 v29, v22, v5
	v_fmac_f32_e32 v29, v23, v6
	s_waitcnt lgkmcnt(0)
	v_fmac_f32_e32 v29, v24, v18
	v_fmac_f32_e32 v29, v25, v19
	s_waitcnt vmcnt(0)
	v_fmac_f32_e32 v28, s33, v29
	global_store_dword v[3:4], v28, off
	s_branch .LBB1_6
.LBB1_13:
	s_endpgm
	.section	.rodata,"a",@progbits
	.p2align	6, 0x0
	.amdhsa_kernel _ZL24rocblas_symm_hemm_kernelILb0ELb0ELi32EPKfS1_PfEvbiiT2_T3_lllS4_lllT4_llli
		.amdhsa_group_segment_fixed_size 8192
		.amdhsa_private_segment_fixed_size 0
		.amdhsa_kernarg_size 384
		.amdhsa_user_sgpr_count 6
		.amdhsa_user_sgpr_private_segment_buffer 1
		.amdhsa_user_sgpr_dispatch_ptr 0
		.amdhsa_user_sgpr_queue_ptr 0
		.amdhsa_user_sgpr_kernarg_segment_ptr 1
		.amdhsa_user_sgpr_dispatch_id 0
		.amdhsa_user_sgpr_flat_scratch_init 0
		.amdhsa_user_sgpr_private_segment_size 0
		.amdhsa_uses_dynamic_stack 0
		.amdhsa_system_sgpr_private_segment_wavefront_offset 0
		.amdhsa_system_sgpr_workgroup_id_x 1
		.amdhsa_system_sgpr_workgroup_id_y 1
		.amdhsa_system_sgpr_workgroup_id_z 1
		.amdhsa_system_sgpr_workgroup_info 0
		.amdhsa_system_vgpr_workitem_id 1
		.amdhsa_next_free_vgpr 30
		.amdhsa_next_free_sgpr 61
		.amdhsa_reserve_vcc 1
		.amdhsa_reserve_flat_scratch 0
		.amdhsa_float_round_mode_32 0
		.amdhsa_float_round_mode_16_64 0
		.amdhsa_float_denorm_mode_32 3
		.amdhsa_float_denorm_mode_16_64 3
		.amdhsa_dx10_clamp 1
		.amdhsa_ieee_mode 1
		.amdhsa_fp16_overflow 0
		.amdhsa_exception_fp_ieee_invalid_op 0
		.amdhsa_exception_fp_denorm_src 0
		.amdhsa_exception_fp_ieee_div_zero 0
		.amdhsa_exception_fp_ieee_overflow 0
		.amdhsa_exception_fp_ieee_underflow 0
		.amdhsa_exception_fp_ieee_inexact 0
		.amdhsa_exception_int_div_zero 0
	.end_amdhsa_kernel
	.section	.text._ZL24rocblas_symm_hemm_kernelILb0ELb0ELi32EPKfS1_PfEvbiiT2_T3_lllS4_lllT4_llli,"axG",@progbits,_ZL24rocblas_symm_hemm_kernelILb0ELb0ELi32EPKfS1_PfEvbiiT2_T3_lllS4_lllT4_llli,comdat
.Lfunc_end1:
	.size	_ZL24rocblas_symm_hemm_kernelILb0ELb0ELi32EPKfS1_PfEvbiiT2_T3_lllS4_lllT4_llli, .Lfunc_end1-_ZL24rocblas_symm_hemm_kernelILb0ELb0ELi32EPKfS1_PfEvbiiT2_T3_lllS4_lllT4_llli
                                        ; -- End function
	.set _ZL24rocblas_symm_hemm_kernelILb0ELb0ELi32EPKfS1_PfEvbiiT2_T3_lllS4_lllT4_llli.num_vgpr, 30
	.set _ZL24rocblas_symm_hemm_kernelILb0ELb0ELi32EPKfS1_PfEvbiiT2_T3_lllS4_lllT4_llli.num_agpr, 0
	.set _ZL24rocblas_symm_hemm_kernelILb0ELb0ELi32EPKfS1_PfEvbiiT2_T3_lllS4_lllT4_llli.numbered_sgpr, 44
	.set _ZL24rocblas_symm_hemm_kernelILb0ELb0ELi32EPKfS1_PfEvbiiT2_T3_lllS4_lllT4_llli.num_named_barrier, 0
	.set _ZL24rocblas_symm_hemm_kernelILb0ELb0ELi32EPKfS1_PfEvbiiT2_T3_lllS4_lllT4_llli.private_seg_size, 0
	.set _ZL24rocblas_symm_hemm_kernelILb0ELb0ELi32EPKfS1_PfEvbiiT2_T3_lllS4_lllT4_llli.uses_vcc, 1
	.set _ZL24rocblas_symm_hemm_kernelILb0ELb0ELi32EPKfS1_PfEvbiiT2_T3_lllS4_lllT4_llli.uses_flat_scratch, 0
	.set _ZL24rocblas_symm_hemm_kernelILb0ELb0ELi32EPKfS1_PfEvbiiT2_T3_lllS4_lllT4_llli.has_dyn_sized_stack, 0
	.set _ZL24rocblas_symm_hemm_kernelILb0ELb0ELi32EPKfS1_PfEvbiiT2_T3_lllS4_lllT4_llli.has_recursion, 0
	.set _ZL24rocblas_symm_hemm_kernelILb0ELb0ELi32EPKfS1_PfEvbiiT2_T3_lllS4_lllT4_llli.has_indirect_call, 0
	.section	.AMDGPU.csdata,"",@progbits
; Kernel info:
; codeLenInByte = 1244
; TotalNumSgprs: 48
; NumVgprs: 30
; ScratchSize: 0
; MemoryBound: 0
; FloatMode: 240
; IeeeMode: 1
; LDSByteSize: 8192 bytes/workgroup (compile time only)
; SGPRBlocks: 8
; VGPRBlocks: 7
; NumSGPRsForWavesPerEU: 65
; NumVGPRsForWavesPerEU: 30
; Occupancy: 8
; WaveLimiterHint : 0
; COMPUTE_PGM_RSRC2:SCRATCH_EN: 0
; COMPUTE_PGM_RSRC2:USER_SGPR: 6
; COMPUTE_PGM_RSRC2:TRAP_HANDLER: 0
; COMPUTE_PGM_RSRC2:TGID_X_EN: 1
; COMPUTE_PGM_RSRC2:TGID_Y_EN: 1
; COMPUTE_PGM_RSRC2:TGID_Z_EN: 1
; COMPUTE_PGM_RSRC2:TIDIG_COMP_CNT: 1
	.section	.text._ZL24rocblas_symm_hemm_kernelILb0ELb1ELi32EPKfS1_PfEvbiiT2_T3_lllS4_lllT4_llli,"axG",@progbits,_ZL24rocblas_symm_hemm_kernelILb0ELb1ELi32EPKfS1_PfEvbiiT2_T3_lllS4_lllT4_llli,comdat
	.globl	_ZL24rocblas_symm_hemm_kernelILb0ELb1ELi32EPKfS1_PfEvbiiT2_T3_lllS4_lllT4_llli ; -- Begin function _ZL24rocblas_symm_hemm_kernelILb0ELb1ELi32EPKfS1_PfEvbiiT2_T3_lllS4_lllT4_llli
	.p2align	8
	.type	_ZL24rocblas_symm_hemm_kernelILb0ELb1ELi32EPKfS1_PfEvbiiT2_T3_lllS4_lllT4_llli,@function
_ZL24rocblas_symm_hemm_kernelILb0ELb1ELi32EPKfS1_PfEvbiiT2_T3_lllS4_lllT4_llli: ; @_ZL24rocblas_symm_hemm_kernelILb0ELb1ELi32EPKfS1_PfEvbiiT2_T3_lllS4_lllT4_llli
; %bb.0:
	s_load_dwordx16 s[12:27], s[4:5], 0x10
	s_waitcnt lgkmcnt(0)
	s_load_dword s12, s[12:13], 0x0
	s_waitcnt lgkmcnt(0)
	v_cmp_eq_f32_e64 s[0:1], s12, 0
	s_and_b64 vcc, exec, s[0:1]
	s_cbranch_vccnz .LBB2_13
; %bb.1:
	s_load_dwordx4 s[28:31], s[4:5], 0x0
	s_waitcnt lgkmcnt(0)
	s_add_i32 s0, s30, -1
	s_ashr_i32 s1, s0, 31
	s_lshr_b32 s1, s1, 27
	s_add_i32 s0, s0, s1
	s_ashr_i32 s13, s0, 5
	s_cmp_gt_i32 s7, s13
	s_cbranch_scc1 .LBB2_13
; %bb.2:
	s_mul_i32 s0, s21, s8
	s_mul_hi_u32 s1, s20, s8
	s_add_i32 s1, s1, s0
	s_mul_i32 s0, s20, s8
	s_lshl_b64 s[0:1], s[0:1], 2
	s_add_u32 s2, s14, s0
	s_addc_u32 s3, s15, s1
	s_lshl_b64 s[0:1], s[16:17], 2
	s_add_u32 s14, s2, s0
	s_addc_u32 s15, s3, s1
	s_load_dwordx2 s[2:3], s[4:5], 0x70
	s_load_dwordx8 s[36:43], s[4:5], 0x50
	s_load_dword s16, s[4:5], 0x84
	s_bitcmp1_b32 s28, 0
	s_cselect_b64 s[0:1], -1, 0
	v_lshl_add_u32 v2, s6, 5, v0
	s_waitcnt lgkmcnt(0)
	s_mul_i32 s3, s3, s8
	s_mul_hi_u32 s4, s2, s8
	s_add_i32 s3, s4, s3
	s_mul_i32 s2, s2, s8
	s_lshl_b64 s[2:3], s[2:3], 2
	s_add_u32 s4, s38, s2
	s_addc_u32 s5, s39, s3
	s_lshl_b64 s[2:3], s[40:41], 2
	s_add_u32 s4, s4, s2
	s_addc_u32 s5, s5, s3
	s_mul_i32 s2, s37, s8
	s_mul_hi_u32 s3, s36, s8
	s_add_i32 s3, s3, s2
	s_mul_i32 s2, s36, s8
	s_lshl_b64 s[2:3], s[2:3], 2
	s_add_u32 s8, s22, s2
	s_addc_u32 s9, s23, s3
	s_lshl_b64 s[2:3], s[24:25], 2
	s_add_u32 s8, s8, s2
	v_ashrrev_i32_e32 v3, 31, v2
	s_addc_u32 s9, s9, s3
	v_cmp_gt_i32_e64 s[2:3], s29, v2
	v_lshlrev_b64 v[2:3], 2, v[2:3]
	v_mov_b32_e32 v4, s9
	v_add_co_u32_e32 v6, vcc, s8, v2
	s_cmp_gt_i32 s30, 0
	v_addc_co_u32_e32 v7, vcc, v4, v3, vcc
	v_lshlrev_b32_e32 v8, 7, v0
	v_lshlrev_b32_e32 v4, 2, v1
	v_add_u32_e32 v9, v8, v4
	v_or_b32_e32 v10, 0x1000, v4
	v_mov_b32_e32 v4, s5
	v_add_co_u32_e32 v12, vcc, s4, v2
	s_cselect_b64 s[4:5], -1, 0
	v_cndmask_b32_e64 v2, 0, 1, s[4:5]
	v_add_u32_e32 v11, v10, v8
	v_addc_co_u32_e32 v13, vcc, v4, v3, vcc
	v_cmp_ne_u32_e64 s[4:5], 1, v2
	v_add_u32_e32 v14, 0x400, v10
	v_add_u32_e32 v15, 0x800, v10
	v_add_u32_e32 v16, 0xc00, v10
	s_branch .LBB2_4
.LBB2_3:                                ;   in Loop: Header=BB2_4 Depth=1
	s_add_i32 s7, s7, s16
	s_cmp_gt_i32 s7, s13
	s_cbranch_scc1 .LBB2_13
.LBB2_4:                                ; =>This Loop Header: Depth=1
                                        ;     Child Loop BB2_7 Depth 2
	s_and_b64 vcc, exec, s[4:5]
	s_cbranch_vccnz .LBB2_3
; %bb.5:                                ;   in Loop: Header=BB2_4 Depth=1
	v_lshl_add_u32 v17, s7, 5, v1
	v_ashrrev_i32_e32 v2, 31, v17
	v_mul_lo_u32 v4, s42, v2
	v_mul_lo_u32 v5, s43, v17
	v_mad_u64_u32 v[2:3], s[8:9], s42, v17, 0
	v_cmp_gt_i32_e32 vcc, s30, v17
	s_and_b64 s[8:9], s[2:3], vcc
	v_add3_u32 v3, v3, v4, v5
	v_lshlrev_b64 v[2:3], 2, v[2:3]
	s_mov_b32 s6, 0
	v_add_co_u32_e32 v2, vcc, v12, v2
	v_addc_co_u32_e32 v3, vcc, v13, v3, vcc
	s_branch .LBB2_7
.LBB2_6:                                ;   in Loop: Header=BB2_7 Depth=2
	s_or_b64 exec, exec, s[10:11]
	s_add_i32 s6, s6, 32
	s_cmp_ge_i32 s6, s30
	s_waitcnt vmcnt(0)
	s_barrier
	s_cbranch_scc1 .LBB2_3
.LBB2_7:                                ;   Parent Loop BB2_4 Depth=1
                                        ; =>  This Inner Loop Header: Depth=2
	v_add_u32_e32 v4, s6, v1
	v_cmp_gt_i32_e32 vcc, s30, v4
	s_and_b64 s[20:21], s[2:3], vcc
	v_mov_b32_e32 v5, 0
	v_mov_b32_e32 v18, 0
	s_and_saveexec_b64 s[10:11], s[20:21]
	s_cbranch_execz .LBB2_9
; %bb.8:                                ;   in Loop: Header=BB2_7 Depth=2
	v_ashrrev_i32_e32 v20, 31, v4
	v_mul_lo_u32 v21, s27, v4
	v_mad_u64_u32 v[18:19], s[20:21], s26, v4, 0
	v_mul_lo_u32 v4, s26, v20
	v_add3_u32 v19, v19, v4, v21
	v_lshlrev_b64 v[18:19], 2, v[18:19]
	v_add_co_u32_e32 v18, vcc, v6, v18
	v_addc_co_u32_e32 v19, vcc, v7, v19, vcc
	global_load_dword v18, v[18:19], off
.LBB2_9:                                ;   in Loop: Header=BB2_7 Depth=2
	s_or_b64 exec, exec, s[10:11]
	s_waitcnt vmcnt(0)
	ds_write_b32 v9, v18
	v_add_u32_e32 v18, s6, v0
	v_cndmask_b32_e64 v4, v17, v18, s[0:1]
	v_cndmask_b32_e64 v19, v18, v17, s[0:1]
	v_cmp_gt_i32_e32 vcc, v4, v19
	v_cndmask_b32_e32 v4, v18, v17, vcc
	v_cndmask_b32_e32 v18, v17, v18, vcc
	v_max_i32_e32 v19, v4, v18
	v_cmp_gt_i32_e32 vcc, s30, v19
	s_and_saveexec_b64 s[10:11], vcc
	s_cbranch_execz .LBB2_11
; %bb.10:                               ;   in Loop: Header=BB2_7 Depth=2
	v_ashrrev_i32_e32 v5, 31, v18
	v_mul_lo_u32 v20, s19, v18
	v_mad_u64_u32 v[18:19], s[20:21], s18, v18, 0
	v_mul_lo_u32 v5, s18, v5
	v_add3_u32 v19, v19, v5, v20
	v_lshlrev_b64 v[18:19], 2, v[18:19]
	v_ashrrev_i32_e32 v5, 31, v4
	v_mov_b32_e32 v20, s15
	v_add_co_u32_e32 v18, vcc, s14, v18
	v_lshlrev_b64 v[4:5], 2, v[4:5]
	v_addc_co_u32_e32 v19, vcc, v20, v19, vcc
	v_add_co_u32_e32 v4, vcc, v18, v4
	v_addc_co_u32_e32 v5, vcc, v19, v5, vcc
	global_load_dword v5, v[4:5], off
.LBB2_11:                               ;   in Loop: Header=BB2_7 Depth=2
	s_or_b64 exec, exec, s[10:11]
	s_waitcnt vmcnt(0)
	ds_write_b32 v11, v5
	s_waitcnt lgkmcnt(0)
	s_barrier
	s_and_saveexec_b64 s[10:11], s[8:9]
	s_cbranch_execz .LBB2_6
; %bb.12:                               ;   in Loop: Header=BB2_7 Depth=2
	global_load_dword v28, v[2:3], off
	ds_read_b128 v[18:21], v8
	ds_read2_b32 v[4:5], v10 offset1:32
	ds_read2_b32 v[26:27], v10 offset0:64 offset1:96
	ds_read_b128 v[22:25], v8 offset:16
	s_waitcnt lgkmcnt(2)
	v_fma_f32 v29, v18, v4, 0
	v_fmac_f32_e32 v29, v19, v5
	ds_read2_b32 v[4:5], v10 offset0:128 offset1:160
	s_waitcnt lgkmcnt(2)
	v_fmac_f32_e32 v29, v20, v26
	v_fmac_f32_e32 v29, v21, v27
	ds_read2_b32 v[26:27], v10 offset0:192 offset1:224
	ds_read_b128 v[18:21], v8 offset:32
	s_waitcnt lgkmcnt(2)
	v_fmac_f32_e32 v29, v22, v4
	v_fmac_f32_e32 v29, v23, v5
	ds_read2_b32 v[4:5], v14 offset1:32
	s_waitcnt lgkmcnt(2)
	v_fmac_f32_e32 v29, v24, v26
	v_fmac_f32_e32 v29, v25, v27
	ds_read_b128 v[22:25], v8 offset:48
	ds_read2_b32 v[26:27], v14 offset0:64 offset1:96
	s_waitcnt lgkmcnt(2)
	v_fmac_f32_e32 v29, v18, v4
	v_fmac_f32_e32 v29, v19, v5
	ds_read2_b32 v[4:5], v14 offset0:128 offset1:160
	s_waitcnt lgkmcnt(1)
	v_fmac_f32_e32 v29, v20, v26
	v_fmac_f32_e32 v29, v21, v27
	ds_read2_b32 v[26:27], v14 offset0:192 offset1:224
	s_waitcnt lgkmcnt(1)
	v_fmac_f32_e32 v29, v22, v4
	v_fmac_f32_e32 v29, v23, v5
	ds_read_b128 v[18:21], v8 offset:64
	ds_read2_b32 v[4:5], v15 offset1:32
	s_waitcnt lgkmcnt(2)
	v_fmac_f32_e32 v29, v24, v26
	v_fmac_f32_e32 v29, v25, v27
	ds_read2_b32 v[26:27], v15 offset0:64 offset1:96
	ds_read_b128 v[22:25], v8 offset:80
	s_waitcnt lgkmcnt(2)
	v_fmac_f32_e32 v29, v18, v4
	v_fmac_f32_e32 v29, v19, v5
	ds_read2_b32 v[4:5], v15 offset0:128 offset1:160
	s_waitcnt lgkmcnt(2)
	v_fmac_f32_e32 v29, v20, v26
	v_fmac_f32_e32 v29, v21, v27
	ds_read2_b32 v[26:27], v15 offset0:192 offset1:224
	s_waitcnt lgkmcnt(1)
	v_fmac_f32_e32 v29, v22, v4
	v_fmac_f32_e32 v29, v23, v5
	ds_read_b128 v[18:21], v8 offset:96
	ds_read2_b32 v[4:5], v16 offset1:32
	s_waitcnt lgkmcnt(2)
	v_fmac_f32_e32 v29, v24, v26
	v_fmac_f32_e32 v29, v25, v27
	ds_read2_b32 v[26:27], v16 offset0:64 offset1:96
	ds_read_b128 v[22:25], v8 offset:112
	s_waitcnt lgkmcnt(2)
	v_fmac_f32_e32 v29, v18, v4
	v_fmac_f32_e32 v29, v19, v5
	ds_read2_b32 v[4:5], v16 offset0:128 offset1:160
	ds_read2_b32 v[18:19], v16 offset0:192 offset1:224
	s_waitcnt lgkmcnt(3)
	v_fmac_f32_e32 v29, v20, v26
	v_fmac_f32_e32 v29, v21, v27
	s_waitcnt lgkmcnt(1)
	v_fmac_f32_e32 v29, v22, v4
	v_fmac_f32_e32 v29, v23, v5
	;; [unrolled: 3-line block ×3, first 2 shown]
	s_waitcnt vmcnt(0)
	v_fmac_f32_e32 v28, s12, v29
	global_store_dword v[2:3], v28, off
	s_branch .LBB2_6
.LBB2_13:
	s_endpgm
	.section	.rodata,"a",@progbits
	.p2align	6, 0x0
	.amdhsa_kernel _ZL24rocblas_symm_hemm_kernelILb0ELb1ELi32EPKfS1_PfEvbiiT2_T3_lllS4_lllT4_llli
		.amdhsa_group_segment_fixed_size 8192
		.amdhsa_private_segment_fixed_size 0
		.amdhsa_kernarg_size 384
		.amdhsa_user_sgpr_count 6
		.amdhsa_user_sgpr_private_segment_buffer 1
		.amdhsa_user_sgpr_dispatch_ptr 0
		.amdhsa_user_sgpr_queue_ptr 0
		.amdhsa_user_sgpr_kernarg_segment_ptr 1
		.amdhsa_user_sgpr_dispatch_id 0
		.amdhsa_user_sgpr_flat_scratch_init 0
		.amdhsa_user_sgpr_private_segment_size 0
		.amdhsa_uses_dynamic_stack 0
		.amdhsa_system_sgpr_private_segment_wavefront_offset 0
		.amdhsa_system_sgpr_workgroup_id_x 1
		.amdhsa_system_sgpr_workgroup_id_y 1
		.amdhsa_system_sgpr_workgroup_id_z 1
		.amdhsa_system_sgpr_workgroup_info 0
		.amdhsa_system_vgpr_workitem_id 1
		.amdhsa_next_free_vgpr 30
		.amdhsa_next_free_sgpr 61
		.amdhsa_reserve_vcc 1
		.amdhsa_reserve_flat_scratch 0
		.amdhsa_float_round_mode_32 0
		.amdhsa_float_round_mode_16_64 0
		.amdhsa_float_denorm_mode_32 3
		.amdhsa_float_denorm_mode_16_64 3
		.amdhsa_dx10_clamp 1
		.amdhsa_ieee_mode 1
		.amdhsa_fp16_overflow 0
		.amdhsa_exception_fp_ieee_invalid_op 0
		.amdhsa_exception_fp_denorm_src 0
		.amdhsa_exception_fp_ieee_div_zero 0
		.amdhsa_exception_fp_ieee_overflow 0
		.amdhsa_exception_fp_ieee_underflow 0
		.amdhsa_exception_fp_ieee_inexact 0
		.amdhsa_exception_int_div_zero 0
	.end_amdhsa_kernel
	.section	.text._ZL24rocblas_symm_hemm_kernelILb0ELb1ELi32EPKfS1_PfEvbiiT2_T3_lllS4_lllT4_llli,"axG",@progbits,_ZL24rocblas_symm_hemm_kernelILb0ELb1ELi32EPKfS1_PfEvbiiT2_T3_lllS4_lllT4_llli,comdat
.Lfunc_end2:
	.size	_ZL24rocblas_symm_hemm_kernelILb0ELb1ELi32EPKfS1_PfEvbiiT2_T3_lllS4_lllT4_llli, .Lfunc_end2-_ZL24rocblas_symm_hemm_kernelILb0ELb1ELi32EPKfS1_PfEvbiiT2_T3_lllS4_lllT4_llli
                                        ; -- End function
	.set _ZL24rocblas_symm_hemm_kernelILb0ELb1ELi32EPKfS1_PfEvbiiT2_T3_lllS4_lllT4_llli.num_vgpr, 30
	.set _ZL24rocblas_symm_hemm_kernelILb0ELb1ELi32EPKfS1_PfEvbiiT2_T3_lllS4_lllT4_llli.num_agpr, 0
	.set _ZL24rocblas_symm_hemm_kernelILb0ELb1ELi32EPKfS1_PfEvbiiT2_T3_lllS4_lllT4_llli.numbered_sgpr, 44
	.set _ZL24rocblas_symm_hemm_kernelILb0ELb1ELi32EPKfS1_PfEvbiiT2_T3_lllS4_lllT4_llli.num_named_barrier, 0
	.set _ZL24rocblas_symm_hemm_kernelILb0ELb1ELi32EPKfS1_PfEvbiiT2_T3_lllS4_lllT4_llli.private_seg_size, 0
	.set _ZL24rocblas_symm_hemm_kernelILb0ELb1ELi32EPKfS1_PfEvbiiT2_T3_lllS4_lllT4_llli.uses_vcc, 1
	.set _ZL24rocblas_symm_hemm_kernelILb0ELb1ELi32EPKfS1_PfEvbiiT2_T3_lllS4_lllT4_llli.uses_flat_scratch, 0
	.set _ZL24rocblas_symm_hemm_kernelILb0ELb1ELi32EPKfS1_PfEvbiiT2_T3_lllS4_lllT4_llli.has_dyn_sized_stack, 0
	.set _ZL24rocblas_symm_hemm_kernelILb0ELb1ELi32EPKfS1_PfEvbiiT2_T3_lllS4_lllT4_llli.has_recursion, 0
	.set _ZL24rocblas_symm_hemm_kernelILb0ELb1ELi32EPKfS1_PfEvbiiT2_T3_lllS4_lllT4_llli.has_indirect_call, 0
	.section	.AMDGPU.csdata,"",@progbits
; Kernel info:
; codeLenInByte = 1172
; TotalNumSgprs: 48
; NumVgprs: 30
; ScratchSize: 0
; MemoryBound: 0
; FloatMode: 240
; IeeeMode: 1
; LDSByteSize: 8192 bytes/workgroup (compile time only)
; SGPRBlocks: 8
; VGPRBlocks: 7
; NumSGPRsForWavesPerEU: 65
; NumVGPRsForWavesPerEU: 30
; Occupancy: 8
; WaveLimiterHint : 0
; COMPUTE_PGM_RSRC2:SCRATCH_EN: 0
; COMPUTE_PGM_RSRC2:USER_SGPR: 6
; COMPUTE_PGM_RSRC2:TRAP_HANDLER: 0
; COMPUTE_PGM_RSRC2:TGID_X_EN: 1
; COMPUTE_PGM_RSRC2:TGID_Y_EN: 1
; COMPUTE_PGM_RSRC2:TGID_Z_EN: 1
; COMPUTE_PGM_RSRC2:TIDIG_COMP_CNT: 1
	.section	.text._ZL25rocblas_symm_scale_kernelILi128ELi8EfPfEviiT1_T2_llli,"axG",@progbits,_ZL25rocblas_symm_scale_kernelILi128ELi8EfPfEviiT1_T2_llli,comdat
	.globl	_ZL25rocblas_symm_scale_kernelILi128ELi8EfPfEviiT1_T2_llli ; -- Begin function _ZL25rocblas_symm_scale_kernelILi128ELi8EfPfEviiT1_T2_llli
	.p2align	8
	.type	_ZL25rocblas_symm_scale_kernelILi128ELi8EfPfEviiT1_T2_llli,@function
_ZL25rocblas_symm_scale_kernelILi128ELi8EfPfEviiT1_T2_llli: ; @_ZL25rocblas_symm_scale_kernelILi128ELi8EfPfEviiT1_T2_llli
; %bb.0:
	s_load_dwordx4 s[0:3], s[4:5], 0x0
	s_waitcnt lgkmcnt(0)
	v_cmp_eq_f32_e64 s[10:11], s2, 1.0
	s_and_b64 vcc, exec, s[10:11]
	s_cbranch_vccnz .LBB3_7
; %bb.1:
	v_lshl_add_u32 v2, s6, 7, v0
	v_lshl_add_u32 v0, s7, 3, v1
	v_mov_b32_e32 v1, 0
	s_ashr_i32 s7, s1, 31
	s_mov_b32 s6, s1
	v_cmp_gt_i64_e32 vcc, s[6:7], v[0:1]
	v_cmp_gt_u32_e64 s[0:1], s0, v2
	s_and_b64 s[0:1], s[0:1], vcc
	s_and_saveexec_b64 s[10:11], s[0:1]
	s_cbranch_execz .LBB3_7
; %bb.2:
	s_load_dwordx8 s[12:19], s[4:5], 0x10
	s_load_dword s3, s[4:5], 0x3c
	v_mov_b32_e32 v3, v1
	v_lshlrev_b64 v[2:3], 2, v[2:3]
	s_waitcnt lgkmcnt(0)
	v_mad_u64_u32 v[4:5], s[0:1], s16, v0, 0
	s_mul_i32 s4, s19, s8
	s_mul_hi_u32 s5, s18, s8
	v_mad_u64_u32 v[5:6], s[0:1], s17, v0, v[5:6]
	s_mul_i32 s0, s18, s8
	s_add_i32 s1, s5, s4
	s_lshl_b32 s3, s3, 3
	s_lshl_b64 s[0:1], s[0:1], 2
	s_lshl_b64 s[4:5], s[14:15], 2
	v_lshlrev_b64 v[4:5], 2, v[4:5]
	s_add_u32 s0, s4, s0
	s_addc_u32 s1, s5, s1
	v_mov_b32_e32 v6, s1
	v_add_co_u32_e32 v4, vcc, s0, v4
	v_addc_co_u32_e32 v5, vcc, v6, v5, vcc
	v_add_co_u32_e32 v2, vcc, v4, v2
	s_mul_i32 s0, s17, s3
	s_mul_hi_u32 s1, s16, s3
	v_addc_co_u32_e32 v3, vcc, v5, v3, vcc
	s_add_i32 s1, s1, s0
	s_mul_i32 s0, s16, s3
	v_mov_b32_e32 v4, s13
	v_add_co_u32_e32 v2, vcc, s12, v2
	s_lshl_b64 s[4:5], s[0:1], 2
	v_cmp_neq_f32_e64 s[0:1], s2, 0
	v_addc_co_u32_e32 v3, vcc, v4, v3, vcc
	v_cndmask_b32_e64 v4, 0, 1, s[0:1]
	s_mov_b64 s[8:9], 0
	v_cmp_ne_u32_e64 s[0:1], 1, v4
	v_mov_b32_e32 v4, s5
	s_branch .LBB3_5
.LBB3_3:                                ;   in Loop: Header=BB3_5 Depth=1
	global_load_dword v5, v[2:3], off
	s_waitcnt vmcnt(0)
	v_mul_f32_e32 v5, s2, v5
.LBB3_4:                                ;   in Loop: Header=BB3_5 Depth=1
	v_add_co_u32_e32 v0, vcc, s3, v0
	v_addc_co_u32_e32 v1, vcc, 0, v1, vcc
	v_cmp_le_i64_e32 vcc, s[6:7], v[0:1]
	global_store_dword v[2:3], v5, off
	s_or_b64 s[8:9], vcc, s[8:9]
	v_add_co_u32_e32 v2, vcc, s4, v2
	v_addc_co_u32_e32 v3, vcc, v3, v4, vcc
	s_andn2_b64 exec, exec, s[8:9]
	s_cbranch_execz .LBB3_7
.LBB3_5:                                ; =>This Inner Loop Header: Depth=1
	s_and_b64 vcc, exec, s[0:1]
	s_cbranch_vccz .LBB3_3
; %bb.6:                                ;   in Loop: Header=BB3_5 Depth=1
	v_mov_b32_e32 v5, 0
	s_branch .LBB3_4
.LBB3_7:
	s_endpgm
	.section	.rodata,"a",@progbits
	.p2align	6, 0x0
	.amdhsa_kernel _ZL25rocblas_symm_scale_kernelILi128ELi8EfPfEviiT1_T2_llli
		.amdhsa_group_segment_fixed_size 0
		.amdhsa_private_segment_fixed_size 0
		.amdhsa_kernarg_size 312
		.amdhsa_user_sgpr_count 6
		.amdhsa_user_sgpr_private_segment_buffer 1
		.amdhsa_user_sgpr_dispatch_ptr 0
		.amdhsa_user_sgpr_queue_ptr 0
		.amdhsa_user_sgpr_kernarg_segment_ptr 1
		.amdhsa_user_sgpr_dispatch_id 0
		.amdhsa_user_sgpr_flat_scratch_init 0
		.amdhsa_user_sgpr_private_segment_size 0
		.amdhsa_uses_dynamic_stack 0
		.amdhsa_system_sgpr_private_segment_wavefront_offset 0
		.amdhsa_system_sgpr_workgroup_id_x 1
		.amdhsa_system_sgpr_workgroup_id_y 1
		.amdhsa_system_sgpr_workgroup_id_z 1
		.amdhsa_system_sgpr_workgroup_info 0
		.amdhsa_system_vgpr_workitem_id 1
		.amdhsa_next_free_vgpr 7
		.amdhsa_next_free_sgpr 20
		.amdhsa_reserve_vcc 1
		.amdhsa_reserve_flat_scratch 0
		.amdhsa_float_round_mode_32 0
		.amdhsa_float_round_mode_16_64 0
		.amdhsa_float_denorm_mode_32 3
		.amdhsa_float_denorm_mode_16_64 3
		.amdhsa_dx10_clamp 1
		.amdhsa_ieee_mode 1
		.amdhsa_fp16_overflow 0
		.amdhsa_exception_fp_ieee_invalid_op 0
		.amdhsa_exception_fp_denorm_src 0
		.amdhsa_exception_fp_ieee_div_zero 0
		.amdhsa_exception_fp_ieee_overflow 0
		.amdhsa_exception_fp_ieee_underflow 0
		.amdhsa_exception_fp_ieee_inexact 0
		.amdhsa_exception_int_div_zero 0
	.end_amdhsa_kernel
	.section	.text._ZL25rocblas_symm_scale_kernelILi128ELi8EfPfEviiT1_T2_llli,"axG",@progbits,_ZL25rocblas_symm_scale_kernelILi128ELi8EfPfEviiT1_T2_llli,comdat
.Lfunc_end3:
	.size	_ZL25rocblas_symm_scale_kernelILi128ELi8EfPfEviiT1_T2_llli, .Lfunc_end3-_ZL25rocblas_symm_scale_kernelILi128ELi8EfPfEviiT1_T2_llli
                                        ; -- End function
	.set _ZL25rocblas_symm_scale_kernelILi128ELi8EfPfEviiT1_T2_llli.num_vgpr, 7
	.set _ZL25rocblas_symm_scale_kernelILi128ELi8EfPfEviiT1_T2_llli.num_agpr, 0
	.set _ZL25rocblas_symm_scale_kernelILi128ELi8EfPfEviiT1_T2_llli.numbered_sgpr, 20
	.set _ZL25rocblas_symm_scale_kernelILi128ELi8EfPfEviiT1_T2_llli.num_named_barrier, 0
	.set _ZL25rocblas_symm_scale_kernelILi128ELi8EfPfEviiT1_T2_llli.private_seg_size, 0
	.set _ZL25rocblas_symm_scale_kernelILi128ELi8EfPfEviiT1_T2_llli.uses_vcc, 1
	.set _ZL25rocblas_symm_scale_kernelILi128ELi8EfPfEviiT1_T2_llli.uses_flat_scratch, 0
	.set _ZL25rocblas_symm_scale_kernelILi128ELi8EfPfEviiT1_T2_llli.has_dyn_sized_stack, 0
	.set _ZL25rocblas_symm_scale_kernelILi128ELi8EfPfEviiT1_T2_llli.has_recursion, 0
	.set _ZL25rocblas_symm_scale_kernelILi128ELi8EfPfEviiT1_T2_llli.has_indirect_call, 0
	.section	.AMDGPU.csdata,"",@progbits
; Kernel info:
; codeLenInByte = 336
; TotalNumSgprs: 24
; NumVgprs: 7
; ScratchSize: 0
; MemoryBound: 0
; FloatMode: 240
; IeeeMode: 1
; LDSByteSize: 0 bytes/workgroup (compile time only)
; SGPRBlocks: 2
; VGPRBlocks: 1
; NumSGPRsForWavesPerEU: 24
; NumVGPRsForWavesPerEU: 7
; Occupancy: 10
; WaveLimiterHint : 0
; COMPUTE_PGM_RSRC2:SCRATCH_EN: 0
; COMPUTE_PGM_RSRC2:USER_SGPR: 6
; COMPUTE_PGM_RSRC2:TRAP_HANDLER: 0
; COMPUTE_PGM_RSRC2:TGID_X_EN: 1
; COMPUTE_PGM_RSRC2:TGID_Y_EN: 1
; COMPUTE_PGM_RSRC2:TGID_Z_EN: 1
; COMPUTE_PGM_RSRC2:TIDIG_COMP_CNT: 1
	.section	.text._ZL24rocblas_symm_hemm_kernelILb0ELb0ELi32EfPKfPfEvbiiT2_T3_lllS4_lllT4_llli,"axG",@progbits,_ZL24rocblas_symm_hemm_kernelILb0ELb0ELi32EfPKfPfEvbiiT2_T3_lllS4_lllT4_llli,comdat
	.globl	_ZL24rocblas_symm_hemm_kernelILb0ELb0ELi32EfPKfPfEvbiiT2_T3_lllS4_lllT4_llli ; -- Begin function _ZL24rocblas_symm_hemm_kernelILb0ELb0ELi32EfPKfPfEvbiiT2_T3_lllS4_lllT4_llli
	.p2align	8
	.type	_ZL24rocblas_symm_hemm_kernelILb0ELb0ELi32EfPKfPfEvbiiT2_T3_lllS4_lllT4_llli,@function
_ZL24rocblas_symm_hemm_kernelILb0ELb0ELi32EfPKfPfEvbiiT2_T3_lllS4_lllT4_llli: ; @_ZL24rocblas_symm_hemm_kernelILb0ELb0ELi32EfPKfPfEvbiiT2_T3_lllS4_lllT4_llli
; %bb.0:
	s_load_dwordx4 s[28:31], s[4:5], 0x0
	s_waitcnt lgkmcnt(0)
	v_cmp_eq_f32_e64 s[0:1], s31, 0
	s_and_b64 vcc, exec, s[0:1]
	s_cbranch_vccnz .LBB4_13
; %bb.1:
	s_add_i32 s0, s30, -1
	s_ashr_i32 s1, s0, 31
	s_lshr_b32 s1, s1, 27
	s_add_i32 s0, s0, s1
	s_ashr_i32 s33, s0, 5
	s_cmp_gt_i32 s7, s33
	s_cbranch_scc1 .LBB4_13
; %bb.2:
	s_load_dwordx16 s[12:27], s[4:5], 0x10
	s_load_dwordx8 s[36:43], s[4:5], 0x50
	v_lshl_add_u32 v2, s6, 5, v0
	v_lshlrev_b32_e32 v7, 7, v0
	v_lshlrev_b32_e32 v3, 2, v1
	s_waitcnt lgkmcnt(0)
	s_mul_i32 s1, s19, s8
	s_mul_hi_u32 s2, s18, s8
	s_mul_i32 s0, s18, s8
	s_add_i32 s1, s2, s1
	s_lshl_b64 s[0:1], s[0:1], 2
	s_add_u32 s2, s12, s0
	s_addc_u32 s9, s13, s1
	s_lshl_b64 s[0:1], s[14:15], 2
	s_mul_i32 s3, s27, s8
	s_add_u32 s14, s2, s0
	s_mul_hi_u32 s0, s26, s8
	s_addc_u32 s15, s9, s1
	s_add_i32 s1, s0, s3
	s_mul_i32 s0, s26, s8
	s_lshl_b64 s[0:1], s[0:1], 2
	s_add_u32 s2, s20, s0
	s_addc_u32 s3, s21, s1
	s_lshl_b64 s[0:1], s[22:23], 2
	s_add_u32 s18, s2, s0
	s_addc_u32 s19, s3, s1
	s_bitcmp1_b32 s28, 0
	s_mul_i32 s2, s43, s8
	s_mul_hi_u32 s3, s42, s8
	s_cselect_b64 s[0:1], -1, 0
	s_add_i32 s3, s3, s2
	s_mul_i32 s2, s42, s8
	s_lshl_b64 s[2:3], s[2:3], 2
	s_add_u32 s8, s36, s2
	s_addc_u32 s9, s37, s3
	s_lshl_b64 s[2:3], s[38:39], 2
	s_add_u32 s8, s8, s2
	s_addc_u32 s9, s9, s3
	v_add_u32_e32 v8, v7, v3
	v_or_b32_e32 v9, 0x1000, v3
	v_ashrrev_i32_e32 v3, 31, v2
	s_load_dword s6, s[4:5], 0x7c
	s_cmp_gt_i32 s29, 0
	v_lshlrev_b64 v[3:4], 2, v[2:3]
	s_cselect_b64 s[4:5], -1, 0
	v_mov_b32_e32 v5, s9
	v_add_co_u32_e32 v11, vcc, s8, v3
	v_cndmask_b32_e64 v3, 0, 1, s[4:5]
	v_add_u32_e32 v10, v9, v7
	v_cmp_gt_i32_e64 s[2:3], s29, v2
	v_addc_co_u32_e32 v12, vcc, v5, v4, vcc
	v_cmp_ne_u32_e64 s[4:5], 1, v3
	v_add_u32_e32 v13, 0x400, v9
	v_add_u32_e32 v14, 0x800, v9
	;; [unrolled: 1-line block ×3, first 2 shown]
	s_branch .LBB4_4
.LBB4_3:                                ;   in Loop: Header=BB4_4 Depth=1
	s_waitcnt lgkmcnt(0)
	s_add_i32 s7, s7, s6
	s_cmp_gt_i32 s7, s33
	s_cbranch_scc1 .LBB4_13
.LBB4_4:                                ; =>This Loop Header: Depth=1
                                        ;     Child Loop BB4_7 Depth 2
	s_and_b64 vcc, exec, s[4:5]
	s_cbranch_vccnz .LBB4_3
; %bb.5:                                ;   in Loop: Header=BB4_4 Depth=1
	v_lshl_add_u32 v5, s7, 5, v1
	v_ashrrev_i32_e32 v6, 31, v5
	v_mul_lo_u32 v16, s24, v6
	v_mul_lo_u32 v17, s25, v5
	v_mad_u64_u32 v[3:4], s[8:9], s24, v5, 0
	v_cmp_gt_i32_e32 vcc, s30, v5
	v_mul_lo_u32 v18, s40, v6
	v_mul_lo_u32 v19, s41, v5
	v_mad_u64_u32 v[5:6], s[8:9], s40, v5, 0
	v_add3_u32 v4, v4, v16, v17
	v_lshlrev_b64 v[3:4], 2, v[3:4]
	v_mov_b32_e32 v17, s19
	v_add_co_u32_e64 v16, s[8:9], s18, v3
	v_add3_u32 v6, v6, v18, v19
	v_addc_co_u32_e64 v17, s[8:9], v17, v4, s[8:9]
	v_lshlrev_b64 v[3:4], 2, v[5:6]
	s_and_b64 s[10:11], s[2:3], vcc
	v_add_co_u32_e64 v3, s[8:9], v11, v3
	v_addc_co_u32_e64 v4, s[8:9], v12, v4, s[8:9]
	s_mov_b32 s20, 0
	s_branch .LBB4_7
.LBB4_6:                                ;   in Loop: Header=BB4_7 Depth=2
	s_or_b64 exec, exec, s[8:9]
	s_add_i32 s20, s20, 32
	s_cmp_ge_i32 s20, s29
	s_waitcnt vmcnt(0)
	s_barrier
	s_cbranch_scc1 .LBB4_3
.LBB4_7:                                ;   Parent Loop BB4_4 Depth=1
                                        ; =>  This Inner Loop Header: Depth=2
	v_add_u32_e32 v6, s20, v1
	v_cndmask_b32_e64 v5, v6, v2, s[0:1]
	v_cndmask_b32_e64 v18, v2, v6, s[0:1]
	v_cmp_gt_i32_e64 s[8:9], v5, v18
	v_cndmask_b32_e64 v5, v2, v6, s[8:9]
	v_cndmask_b32_e64 v6, v6, v2, s[8:9]
	v_max_i32_e32 v18, v5, v6
	v_cmp_gt_i32_e64 s[8:9], s29, v18
	v_mov_b32_e32 v18, 0
	v_mov_b32_e32 v19, 0
	s_and_saveexec_b64 s[12:13], s[8:9]
	s_cbranch_execz .LBB4_9
; %bb.8:                                ;   in Loop: Header=BB4_7 Depth=2
	v_ashrrev_i32_e32 v21, 31, v6
	v_mul_lo_u32 v22, s17, v6
	v_mad_u64_u32 v[19:20], s[8:9], s16, v6, 0
	v_mul_lo_u32 v6, s16, v21
	v_mov_b32_e32 v21, s15
	v_add3_u32 v20, v20, v6, v22
	v_lshlrev_b64 v[19:20], 2, v[19:20]
	v_ashrrev_i32_e32 v6, 31, v5
	v_add_co_u32_e64 v19, s[8:9], s14, v19
	v_lshlrev_b64 v[5:6], 2, v[5:6]
	v_addc_co_u32_e64 v20, s[8:9], v21, v20, s[8:9]
	v_add_co_u32_e64 v5, s[8:9], v19, v5
	v_addc_co_u32_e64 v6, s[8:9], v20, v6, s[8:9]
	global_load_dword v19, v[5:6], off
.LBB4_9:                                ;   in Loop: Header=BB4_7 Depth=2
	s_or_b64 exec, exec, s[12:13]
	v_add_u32_e32 v5, s20, v0
	v_cmp_gt_i32_e64 s[8:9], s29, v5
	s_and_b64 s[8:9], s[8:9], vcc
	s_waitcnt vmcnt(0)
	ds_write_b32 v8, v19
	s_and_saveexec_b64 s[12:13], s[8:9]
	s_cbranch_execz .LBB4_11
; %bb.10:                               ;   in Loop: Header=BB4_7 Depth=2
	v_ashrrev_i32_e32 v6, 31, v5
	v_lshlrev_b64 v[5:6], 2, v[5:6]
	v_add_co_u32_e64 v5, s[8:9], v16, v5
	v_addc_co_u32_e64 v6, s[8:9], v17, v6, s[8:9]
	global_load_dword v18, v[5:6], off
.LBB4_11:                               ;   in Loop: Header=BB4_7 Depth=2
	s_or_b64 exec, exec, s[12:13]
	s_waitcnt vmcnt(0)
	ds_write_b32 v10, v18
	s_waitcnt lgkmcnt(0)
	s_barrier
	s_and_saveexec_b64 s[8:9], s[10:11]
	s_cbranch_execz .LBB4_6
; %bb.12:                               ;   in Loop: Header=BB4_7 Depth=2
	global_load_dword v28, v[3:4], off
	ds_read_b128 v[18:21], v7
	ds_read2_b32 v[5:6], v9 offset1:32
	ds_read2_b32 v[26:27], v9 offset0:64 offset1:96
	ds_read_b128 v[22:25], v7 offset:16
	s_waitcnt lgkmcnt(2)
	v_fma_f32 v29, v18, v5, 0
	v_fmac_f32_e32 v29, v19, v6
	ds_read2_b32 v[5:6], v9 offset0:128 offset1:160
	s_waitcnt lgkmcnt(2)
	v_fmac_f32_e32 v29, v20, v26
	v_fmac_f32_e32 v29, v21, v27
	ds_read2_b32 v[26:27], v9 offset0:192 offset1:224
	ds_read_b128 v[18:21], v7 offset:32
	s_waitcnt lgkmcnt(2)
	v_fmac_f32_e32 v29, v22, v5
	v_fmac_f32_e32 v29, v23, v6
	ds_read2_b32 v[5:6], v13 offset1:32
	s_waitcnt lgkmcnt(2)
	v_fmac_f32_e32 v29, v24, v26
	v_fmac_f32_e32 v29, v25, v27
	ds_read_b128 v[22:25], v7 offset:48
	ds_read2_b32 v[26:27], v13 offset0:64 offset1:96
	s_waitcnt lgkmcnt(2)
	v_fmac_f32_e32 v29, v18, v5
	v_fmac_f32_e32 v29, v19, v6
	ds_read2_b32 v[5:6], v13 offset0:128 offset1:160
	s_waitcnt lgkmcnt(1)
	v_fmac_f32_e32 v29, v20, v26
	v_fmac_f32_e32 v29, v21, v27
	;; [unrolled: 4-line block ×3, first 2 shown]
	ds_read_b128 v[18:21], v7 offset:64
	ds_read2_b32 v[5:6], v14 offset1:32
	s_waitcnt lgkmcnt(2)
	v_fmac_f32_e32 v29, v24, v26
	v_fmac_f32_e32 v29, v25, v27
	ds_read2_b32 v[26:27], v14 offset0:64 offset1:96
	ds_read_b128 v[22:25], v7 offset:80
	s_waitcnt lgkmcnt(2)
	v_fmac_f32_e32 v29, v18, v5
	v_fmac_f32_e32 v29, v19, v6
	ds_read2_b32 v[5:6], v14 offset0:128 offset1:160
	s_waitcnt lgkmcnt(2)
	v_fmac_f32_e32 v29, v20, v26
	v_fmac_f32_e32 v29, v21, v27
	ds_read2_b32 v[26:27], v14 offset0:192 offset1:224
	s_waitcnt lgkmcnt(1)
	v_fmac_f32_e32 v29, v22, v5
	v_fmac_f32_e32 v29, v23, v6
	ds_read_b128 v[18:21], v7 offset:96
	ds_read2_b32 v[5:6], v15 offset1:32
	s_waitcnt lgkmcnt(2)
	v_fmac_f32_e32 v29, v24, v26
	v_fmac_f32_e32 v29, v25, v27
	ds_read2_b32 v[26:27], v15 offset0:64 offset1:96
	ds_read_b128 v[22:25], v7 offset:112
	s_waitcnt lgkmcnt(2)
	v_fmac_f32_e32 v29, v18, v5
	v_fmac_f32_e32 v29, v19, v6
	ds_read2_b32 v[5:6], v15 offset0:128 offset1:160
	ds_read2_b32 v[18:19], v15 offset0:192 offset1:224
	s_waitcnt lgkmcnt(3)
	v_fmac_f32_e32 v29, v20, v26
	v_fmac_f32_e32 v29, v21, v27
	s_waitcnt lgkmcnt(1)
	v_fmac_f32_e32 v29, v22, v5
	v_fmac_f32_e32 v29, v23, v6
	;; [unrolled: 3-line block ×3, first 2 shown]
	s_waitcnt vmcnt(0)
	v_fmac_f32_e32 v28, s31, v29
	global_store_dword v[3:4], v28, off
	s_branch .LBB4_6
.LBB4_13:
	s_endpgm
	.section	.rodata,"a",@progbits
	.p2align	6, 0x0
	.amdhsa_kernel _ZL24rocblas_symm_hemm_kernelILb0ELb0ELi32EfPKfPfEvbiiT2_T3_lllS4_lllT4_llli
		.amdhsa_group_segment_fixed_size 8192
		.amdhsa_private_segment_fixed_size 0
		.amdhsa_kernarg_size 376
		.amdhsa_user_sgpr_count 6
		.amdhsa_user_sgpr_private_segment_buffer 1
		.amdhsa_user_sgpr_dispatch_ptr 0
		.amdhsa_user_sgpr_queue_ptr 0
		.amdhsa_user_sgpr_kernarg_segment_ptr 1
		.amdhsa_user_sgpr_dispatch_id 0
		.amdhsa_user_sgpr_flat_scratch_init 0
		.amdhsa_user_sgpr_private_segment_size 0
		.amdhsa_uses_dynamic_stack 0
		.amdhsa_system_sgpr_private_segment_wavefront_offset 0
		.amdhsa_system_sgpr_workgroup_id_x 1
		.amdhsa_system_sgpr_workgroup_id_y 1
		.amdhsa_system_sgpr_workgroup_id_z 1
		.amdhsa_system_sgpr_workgroup_info 0
		.amdhsa_system_vgpr_workitem_id 1
		.amdhsa_next_free_vgpr 30
		.amdhsa_next_free_sgpr 61
		.amdhsa_reserve_vcc 1
		.amdhsa_reserve_flat_scratch 0
		.amdhsa_float_round_mode_32 0
		.amdhsa_float_round_mode_16_64 0
		.amdhsa_float_denorm_mode_32 3
		.amdhsa_float_denorm_mode_16_64 3
		.amdhsa_dx10_clamp 1
		.amdhsa_ieee_mode 1
		.amdhsa_fp16_overflow 0
		.amdhsa_exception_fp_ieee_invalid_op 0
		.amdhsa_exception_fp_denorm_src 0
		.amdhsa_exception_fp_ieee_div_zero 0
		.amdhsa_exception_fp_ieee_overflow 0
		.amdhsa_exception_fp_ieee_underflow 0
		.amdhsa_exception_fp_ieee_inexact 0
		.amdhsa_exception_int_div_zero 0
	.end_amdhsa_kernel
	.section	.text._ZL24rocblas_symm_hemm_kernelILb0ELb0ELi32EfPKfPfEvbiiT2_T3_lllS4_lllT4_llli,"axG",@progbits,_ZL24rocblas_symm_hemm_kernelILb0ELb0ELi32EfPKfPfEvbiiT2_T3_lllS4_lllT4_llli,comdat
.Lfunc_end4:
	.size	_ZL24rocblas_symm_hemm_kernelILb0ELb0ELi32EfPKfPfEvbiiT2_T3_lllS4_lllT4_llli, .Lfunc_end4-_ZL24rocblas_symm_hemm_kernelILb0ELb0ELi32EfPKfPfEvbiiT2_T3_lllS4_lllT4_llli
                                        ; -- End function
	.set _ZL24rocblas_symm_hemm_kernelILb0ELb0ELi32EfPKfPfEvbiiT2_T3_lllS4_lllT4_llli.num_vgpr, 30
	.set _ZL24rocblas_symm_hemm_kernelILb0ELb0ELi32EfPKfPfEvbiiT2_T3_lllS4_lllT4_llli.num_agpr, 0
	.set _ZL24rocblas_symm_hemm_kernelILb0ELb0ELi32EfPKfPfEvbiiT2_T3_lllS4_lllT4_llli.numbered_sgpr, 44
	.set _ZL24rocblas_symm_hemm_kernelILb0ELb0ELi32EfPKfPfEvbiiT2_T3_lllS4_lllT4_llli.num_named_barrier, 0
	.set _ZL24rocblas_symm_hemm_kernelILb0ELb0ELi32EfPKfPfEvbiiT2_T3_lllS4_lllT4_llli.private_seg_size, 0
	.set _ZL24rocblas_symm_hemm_kernelILb0ELb0ELi32EfPKfPfEvbiiT2_T3_lllS4_lllT4_llli.uses_vcc, 1
	.set _ZL24rocblas_symm_hemm_kernelILb0ELb0ELi32EfPKfPfEvbiiT2_T3_lllS4_lllT4_llli.uses_flat_scratch, 0
	.set _ZL24rocblas_symm_hemm_kernelILb0ELb0ELi32EfPKfPfEvbiiT2_T3_lllS4_lllT4_llli.has_dyn_sized_stack, 0
	.set _ZL24rocblas_symm_hemm_kernelILb0ELb0ELi32EfPKfPfEvbiiT2_T3_lllS4_lllT4_llli.has_recursion, 0
	.set _ZL24rocblas_symm_hemm_kernelILb0ELb0ELi32EfPKfPfEvbiiT2_T3_lllS4_lllT4_llli.has_indirect_call, 0
	.section	.AMDGPU.csdata,"",@progbits
; Kernel info:
; codeLenInByte = 1220
; TotalNumSgprs: 48
; NumVgprs: 30
; ScratchSize: 0
; MemoryBound: 0
; FloatMode: 240
; IeeeMode: 1
; LDSByteSize: 8192 bytes/workgroup (compile time only)
; SGPRBlocks: 8
; VGPRBlocks: 7
; NumSGPRsForWavesPerEU: 65
; NumVGPRsForWavesPerEU: 30
; Occupancy: 8
; WaveLimiterHint : 0
; COMPUTE_PGM_RSRC2:SCRATCH_EN: 0
; COMPUTE_PGM_RSRC2:USER_SGPR: 6
; COMPUTE_PGM_RSRC2:TRAP_HANDLER: 0
; COMPUTE_PGM_RSRC2:TGID_X_EN: 1
; COMPUTE_PGM_RSRC2:TGID_Y_EN: 1
; COMPUTE_PGM_RSRC2:TGID_Z_EN: 1
; COMPUTE_PGM_RSRC2:TIDIG_COMP_CNT: 1
	.section	.text._ZL24rocblas_symm_hemm_kernelILb0ELb1ELi32EfPKfPfEvbiiT2_T3_lllS4_lllT4_llli,"axG",@progbits,_ZL24rocblas_symm_hemm_kernelILb0ELb1ELi32EfPKfPfEvbiiT2_T3_lllS4_lllT4_llli,comdat
	.globl	_ZL24rocblas_symm_hemm_kernelILb0ELb1ELi32EfPKfPfEvbiiT2_T3_lllS4_lllT4_llli ; -- Begin function _ZL24rocblas_symm_hemm_kernelILb0ELb1ELi32EfPKfPfEvbiiT2_T3_lllS4_lllT4_llli
	.p2align	8
	.type	_ZL24rocblas_symm_hemm_kernelILb0ELb1ELi32EfPKfPfEvbiiT2_T3_lllS4_lllT4_llli,@function
_ZL24rocblas_symm_hemm_kernelILb0ELb1ELi32EfPKfPfEvbiiT2_T3_lllS4_lllT4_llli: ; @_ZL24rocblas_symm_hemm_kernelILb0ELb1ELi32EfPKfPfEvbiiT2_T3_lllS4_lllT4_llli
; %bb.0:
	s_load_dwordx4 s[28:31], s[4:5], 0x0
	s_waitcnt lgkmcnt(0)
	v_cmp_eq_f32_e64 s[0:1], s31, 0
	s_and_b64 vcc, exec, s[0:1]
	s_cbranch_vccnz .LBB5_13
; %bb.1:
	s_add_i32 s0, s30, -1
	s_ashr_i32 s1, s0, 31
	s_lshr_b32 s1, s1, 27
	s_add_i32 s0, s0, s1
	s_ashr_i32 s33, s0, 5
	s_cmp_gt_i32 s7, s33
	s_cbranch_scc1 .LBB5_13
; %bb.2:
	s_load_dwordx16 s[12:27], s[4:5], 0x10
	s_load_dwordx8 s[36:43], s[4:5], 0x50
	v_lshl_add_u32 v2, s6, 5, v0
	v_ashrrev_i32_e32 v3, 31, v2
	s_load_dword s6, s[4:5], 0x7c
	s_waitcnt lgkmcnt(0)
	s_mul_i32 s1, s19, s8
	s_mul_hi_u32 s2, s18, s8
	s_mul_i32 s0, s18, s8
	s_add_i32 s1, s2, s1
	s_lshl_b64 s[0:1], s[0:1], 2
	s_add_u32 s2, s12, s0
	s_addc_u32 s3, s13, s1
	s_lshl_b64 s[0:1], s[14:15], 2
	s_add_u32 s12, s2, s0
	s_addc_u32 s13, s3, s1
	s_bitcmp1_b32 s28, 0
	s_mul_i32 s2, s43, s8
	s_mul_hi_u32 s3, s42, s8
	s_cselect_b64 s[0:1], -1, 0
	s_add_i32 s3, s3, s2
	s_mul_i32 s2, s42, s8
	s_lshl_b64 s[2:3], s[2:3], 2
	s_add_u32 s9, s36, s2
	s_addc_u32 s10, s37, s3
	s_lshl_b64 s[2:3], s[38:39], 2
	s_add_u32 s9, s9, s2
	s_addc_u32 s10, s10, s3
	s_mul_i32 s2, s27, s8
	s_mul_hi_u32 s3, s26, s8
	s_add_i32 s3, s3, s2
	s_mul_i32 s2, s26, s8
	s_lshl_b64 s[2:3], s[2:3], 2
	s_add_u32 s8, s20, s2
	s_addc_u32 s11, s21, s3
	s_lshl_b64 s[2:3], s[22:23], 2
	s_add_u32 s8, s8, s2
	s_addc_u32 s11, s11, s3
	v_cmp_gt_i32_e64 s[2:3], s29, v2
	v_lshlrev_b64 v[2:3], 2, v[2:3]
	s_cmp_gt_i32 s30, 0
	v_mov_b32_e32 v4, s11
	v_add_co_u32_e32 v6, vcc, s8, v2
	v_addc_co_u32_e32 v7, vcc, v4, v3, vcc
	v_lshlrev_b32_e32 v8, 7, v0
	v_lshlrev_b32_e32 v4, 2, v1
	s_cselect_b64 s[4:5], -1, 0
	v_add_u32_e32 v9, v8, v4
	v_or_b32_e32 v10, 0x1000, v4
	v_mov_b32_e32 v4, s10
	v_add_co_u32_e32 v12, vcc, s9, v2
	v_cndmask_b32_e64 v2, 0, 1, s[4:5]
	v_add_u32_e32 v11, v10, v8
	v_addc_co_u32_e32 v13, vcc, v4, v3, vcc
	v_cmp_ne_u32_e64 s[4:5], 1, v2
	v_add_u32_e32 v14, 0x400, v10
	v_add_u32_e32 v15, 0x800, v10
	;; [unrolled: 1-line block ×3, first 2 shown]
	s_branch .LBB5_4
.LBB5_3:                                ;   in Loop: Header=BB5_4 Depth=1
	s_add_i32 s7, s7, s6
	s_cmp_gt_i32 s7, s33
	s_cbranch_scc1 .LBB5_13
.LBB5_4:                                ; =>This Loop Header: Depth=1
                                        ;     Child Loop BB5_7 Depth 2
	s_and_b64 vcc, exec, s[4:5]
	s_cbranch_vccnz .LBB5_3
; %bb.5:                                ;   in Loop: Header=BB5_4 Depth=1
	v_lshl_add_u32 v17, s7, 5, v1
	v_ashrrev_i32_e32 v2, 31, v17
	v_mul_lo_u32 v4, s40, v2
	v_mul_lo_u32 v5, s41, v17
	v_mad_u64_u32 v[2:3], s[8:9], s40, v17, 0
	v_cmp_gt_i32_e32 vcc, s30, v17
	s_and_b64 s[8:9], s[2:3], vcc
	v_add3_u32 v3, v3, v4, v5
	v_lshlrev_b64 v[2:3], 2, v[2:3]
	s_mov_b32 s14, 0
	v_add_co_u32_e32 v2, vcc, v12, v2
	v_addc_co_u32_e32 v3, vcc, v13, v3, vcc
	s_branch .LBB5_7
.LBB5_6:                                ;   in Loop: Header=BB5_7 Depth=2
	s_or_b64 exec, exec, s[10:11]
	s_add_i32 s14, s14, 32
	s_cmp_ge_i32 s14, s30
	s_waitcnt vmcnt(0)
	s_barrier
	s_cbranch_scc1 .LBB5_3
.LBB5_7:                                ;   Parent Loop BB5_4 Depth=1
                                        ; =>  This Inner Loop Header: Depth=2
	v_add_u32_e32 v4, s14, v1
	v_cmp_gt_i32_e32 vcc, s30, v4
	s_and_b64 s[18:19], s[2:3], vcc
	v_mov_b32_e32 v5, 0
	v_mov_b32_e32 v18, 0
	s_and_saveexec_b64 s[10:11], s[18:19]
	s_cbranch_execz .LBB5_9
; %bb.8:                                ;   in Loop: Header=BB5_7 Depth=2
	v_ashrrev_i32_e32 v20, 31, v4
	v_mul_lo_u32 v21, s25, v4
	v_mad_u64_u32 v[18:19], s[18:19], s24, v4, 0
	v_mul_lo_u32 v4, s24, v20
	v_add3_u32 v19, v19, v4, v21
	v_lshlrev_b64 v[18:19], 2, v[18:19]
	v_add_co_u32_e32 v18, vcc, v6, v18
	v_addc_co_u32_e32 v19, vcc, v7, v19, vcc
	global_load_dword v18, v[18:19], off
.LBB5_9:                                ;   in Loop: Header=BB5_7 Depth=2
	s_or_b64 exec, exec, s[10:11]
	s_waitcnt vmcnt(0)
	ds_write_b32 v9, v18
	v_add_u32_e32 v18, s14, v0
	v_cndmask_b32_e64 v4, v17, v18, s[0:1]
	v_cndmask_b32_e64 v19, v18, v17, s[0:1]
	v_cmp_gt_i32_e32 vcc, v4, v19
	v_cndmask_b32_e32 v4, v18, v17, vcc
	v_cndmask_b32_e32 v18, v17, v18, vcc
	v_max_i32_e32 v19, v4, v18
	v_cmp_gt_i32_e32 vcc, s30, v19
	s_and_saveexec_b64 s[10:11], vcc
	s_cbranch_execz .LBB5_11
; %bb.10:                               ;   in Loop: Header=BB5_7 Depth=2
	v_ashrrev_i32_e32 v5, 31, v18
	v_mul_lo_u32 v20, s17, v18
	v_mad_u64_u32 v[18:19], s[18:19], s16, v18, 0
	v_mul_lo_u32 v5, s16, v5
	v_add3_u32 v19, v19, v5, v20
	v_lshlrev_b64 v[18:19], 2, v[18:19]
	v_ashrrev_i32_e32 v5, 31, v4
	v_mov_b32_e32 v20, s13
	v_add_co_u32_e32 v18, vcc, s12, v18
	v_lshlrev_b64 v[4:5], 2, v[4:5]
	v_addc_co_u32_e32 v19, vcc, v20, v19, vcc
	v_add_co_u32_e32 v4, vcc, v18, v4
	v_addc_co_u32_e32 v5, vcc, v19, v5, vcc
	global_load_dword v5, v[4:5], off
.LBB5_11:                               ;   in Loop: Header=BB5_7 Depth=2
	s_or_b64 exec, exec, s[10:11]
	s_waitcnt vmcnt(0)
	ds_write_b32 v11, v5
	s_waitcnt lgkmcnt(0)
	s_barrier
	s_and_saveexec_b64 s[10:11], s[8:9]
	s_cbranch_execz .LBB5_6
; %bb.12:                               ;   in Loop: Header=BB5_7 Depth=2
	global_load_dword v28, v[2:3], off
	ds_read_b128 v[18:21], v8
	ds_read2_b32 v[4:5], v10 offset1:32
	ds_read2_b32 v[26:27], v10 offset0:64 offset1:96
	ds_read_b128 v[22:25], v8 offset:16
	s_waitcnt lgkmcnt(2)
	v_fma_f32 v29, v18, v4, 0
	v_fmac_f32_e32 v29, v19, v5
	ds_read2_b32 v[4:5], v10 offset0:128 offset1:160
	s_waitcnt lgkmcnt(2)
	v_fmac_f32_e32 v29, v20, v26
	v_fmac_f32_e32 v29, v21, v27
	ds_read2_b32 v[26:27], v10 offset0:192 offset1:224
	ds_read_b128 v[18:21], v8 offset:32
	s_waitcnt lgkmcnt(2)
	v_fmac_f32_e32 v29, v22, v4
	v_fmac_f32_e32 v29, v23, v5
	ds_read2_b32 v[4:5], v14 offset1:32
	s_waitcnt lgkmcnt(2)
	v_fmac_f32_e32 v29, v24, v26
	v_fmac_f32_e32 v29, v25, v27
	ds_read_b128 v[22:25], v8 offset:48
	ds_read2_b32 v[26:27], v14 offset0:64 offset1:96
	s_waitcnt lgkmcnt(2)
	v_fmac_f32_e32 v29, v18, v4
	v_fmac_f32_e32 v29, v19, v5
	ds_read2_b32 v[4:5], v14 offset0:128 offset1:160
	s_waitcnt lgkmcnt(1)
	v_fmac_f32_e32 v29, v20, v26
	v_fmac_f32_e32 v29, v21, v27
	ds_read2_b32 v[26:27], v14 offset0:192 offset1:224
	s_waitcnt lgkmcnt(1)
	v_fmac_f32_e32 v29, v22, v4
	v_fmac_f32_e32 v29, v23, v5
	ds_read_b128 v[18:21], v8 offset:64
	ds_read2_b32 v[4:5], v15 offset1:32
	s_waitcnt lgkmcnt(2)
	v_fmac_f32_e32 v29, v24, v26
	v_fmac_f32_e32 v29, v25, v27
	ds_read2_b32 v[26:27], v15 offset0:64 offset1:96
	ds_read_b128 v[22:25], v8 offset:80
	s_waitcnt lgkmcnt(2)
	v_fmac_f32_e32 v29, v18, v4
	v_fmac_f32_e32 v29, v19, v5
	ds_read2_b32 v[4:5], v15 offset0:128 offset1:160
	s_waitcnt lgkmcnt(2)
	v_fmac_f32_e32 v29, v20, v26
	v_fmac_f32_e32 v29, v21, v27
	ds_read2_b32 v[26:27], v15 offset0:192 offset1:224
	s_waitcnt lgkmcnt(1)
	v_fmac_f32_e32 v29, v22, v4
	v_fmac_f32_e32 v29, v23, v5
	ds_read_b128 v[18:21], v8 offset:96
	ds_read2_b32 v[4:5], v16 offset1:32
	s_waitcnt lgkmcnt(2)
	v_fmac_f32_e32 v29, v24, v26
	v_fmac_f32_e32 v29, v25, v27
	ds_read2_b32 v[26:27], v16 offset0:64 offset1:96
	ds_read_b128 v[22:25], v8 offset:112
	s_waitcnt lgkmcnt(2)
	v_fmac_f32_e32 v29, v18, v4
	v_fmac_f32_e32 v29, v19, v5
	ds_read2_b32 v[4:5], v16 offset0:128 offset1:160
	ds_read2_b32 v[18:19], v16 offset0:192 offset1:224
	s_waitcnt lgkmcnt(3)
	v_fmac_f32_e32 v29, v20, v26
	v_fmac_f32_e32 v29, v21, v27
	s_waitcnt lgkmcnt(1)
	v_fmac_f32_e32 v29, v22, v4
	v_fmac_f32_e32 v29, v23, v5
	;; [unrolled: 3-line block ×3, first 2 shown]
	s_waitcnt vmcnt(0)
	v_fmac_f32_e32 v28, s31, v29
	global_store_dword v[2:3], v28, off
	s_branch .LBB5_6
.LBB5_13:
	s_endpgm
	.section	.rodata,"a",@progbits
	.p2align	6, 0x0
	.amdhsa_kernel _ZL24rocblas_symm_hemm_kernelILb0ELb1ELi32EfPKfPfEvbiiT2_T3_lllS4_lllT4_llli
		.amdhsa_group_segment_fixed_size 8192
		.amdhsa_private_segment_fixed_size 0
		.amdhsa_kernarg_size 376
		.amdhsa_user_sgpr_count 6
		.amdhsa_user_sgpr_private_segment_buffer 1
		.amdhsa_user_sgpr_dispatch_ptr 0
		.amdhsa_user_sgpr_queue_ptr 0
		.amdhsa_user_sgpr_kernarg_segment_ptr 1
		.amdhsa_user_sgpr_dispatch_id 0
		.amdhsa_user_sgpr_flat_scratch_init 0
		.amdhsa_user_sgpr_private_segment_size 0
		.amdhsa_uses_dynamic_stack 0
		.amdhsa_system_sgpr_private_segment_wavefront_offset 0
		.amdhsa_system_sgpr_workgroup_id_x 1
		.amdhsa_system_sgpr_workgroup_id_y 1
		.amdhsa_system_sgpr_workgroup_id_z 1
		.amdhsa_system_sgpr_workgroup_info 0
		.amdhsa_system_vgpr_workitem_id 1
		.amdhsa_next_free_vgpr 30
		.amdhsa_next_free_sgpr 61
		.amdhsa_reserve_vcc 1
		.amdhsa_reserve_flat_scratch 0
		.amdhsa_float_round_mode_32 0
		.amdhsa_float_round_mode_16_64 0
		.amdhsa_float_denorm_mode_32 3
		.amdhsa_float_denorm_mode_16_64 3
		.amdhsa_dx10_clamp 1
		.amdhsa_ieee_mode 1
		.amdhsa_fp16_overflow 0
		.amdhsa_exception_fp_ieee_invalid_op 0
		.amdhsa_exception_fp_denorm_src 0
		.amdhsa_exception_fp_ieee_div_zero 0
		.amdhsa_exception_fp_ieee_overflow 0
		.amdhsa_exception_fp_ieee_underflow 0
		.amdhsa_exception_fp_ieee_inexact 0
		.amdhsa_exception_int_div_zero 0
	.end_amdhsa_kernel
	.section	.text._ZL24rocblas_symm_hemm_kernelILb0ELb1ELi32EfPKfPfEvbiiT2_T3_lllS4_lllT4_llli,"axG",@progbits,_ZL24rocblas_symm_hemm_kernelILb0ELb1ELi32EfPKfPfEvbiiT2_T3_lllS4_lllT4_llli,comdat
.Lfunc_end5:
	.size	_ZL24rocblas_symm_hemm_kernelILb0ELb1ELi32EfPKfPfEvbiiT2_T3_lllS4_lllT4_llli, .Lfunc_end5-_ZL24rocblas_symm_hemm_kernelILb0ELb1ELi32EfPKfPfEvbiiT2_T3_lllS4_lllT4_llli
                                        ; -- End function
	.set _ZL24rocblas_symm_hemm_kernelILb0ELb1ELi32EfPKfPfEvbiiT2_T3_lllS4_lllT4_llli.num_vgpr, 30
	.set _ZL24rocblas_symm_hemm_kernelILb0ELb1ELi32EfPKfPfEvbiiT2_T3_lllS4_lllT4_llli.num_agpr, 0
	.set _ZL24rocblas_symm_hemm_kernelILb0ELb1ELi32EfPKfPfEvbiiT2_T3_lllS4_lllT4_llli.numbered_sgpr, 44
	.set _ZL24rocblas_symm_hemm_kernelILb0ELb1ELi32EfPKfPfEvbiiT2_T3_lllS4_lllT4_llli.num_named_barrier, 0
	.set _ZL24rocblas_symm_hemm_kernelILb0ELb1ELi32EfPKfPfEvbiiT2_T3_lllS4_lllT4_llli.private_seg_size, 0
	.set _ZL24rocblas_symm_hemm_kernelILb0ELb1ELi32EfPKfPfEvbiiT2_T3_lllS4_lllT4_llli.uses_vcc, 1
	.set _ZL24rocblas_symm_hemm_kernelILb0ELb1ELi32EfPKfPfEvbiiT2_T3_lllS4_lllT4_llli.uses_flat_scratch, 0
	.set _ZL24rocblas_symm_hemm_kernelILb0ELb1ELi32EfPKfPfEvbiiT2_T3_lllS4_lllT4_llli.has_dyn_sized_stack, 0
	.set _ZL24rocblas_symm_hemm_kernelILb0ELb1ELi32EfPKfPfEvbiiT2_T3_lllS4_lllT4_llli.has_recursion, 0
	.set _ZL24rocblas_symm_hemm_kernelILb0ELb1ELi32EfPKfPfEvbiiT2_T3_lllS4_lllT4_llli.has_indirect_call, 0
	.section	.AMDGPU.csdata,"",@progbits
; Kernel info:
; codeLenInByte = 1148
; TotalNumSgprs: 48
; NumVgprs: 30
; ScratchSize: 0
; MemoryBound: 0
; FloatMode: 240
; IeeeMode: 1
; LDSByteSize: 8192 bytes/workgroup (compile time only)
; SGPRBlocks: 8
; VGPRBlocks: 7
; NumSGPRsForWavesPerEU: 65
; NumVGPRsForWavesPerEU: 30
; Occupancy: 8
; WaveLimiterHint : 0
; COMPUTE_PGM_RSRC2:SCRATCH_EN: 0
; COMPUTE_PGM_RSRC2:USER_SGPR: 6
; COMPUTE_PGM_RSRC2:TRAP_HANDLER: 0
; COMPUTE_PGM_RSRC2:TGID_X_EN: 1
; COMPUTE_PGM_RSRC2:TGID_Y_EN: 1
; COMPUTE_PGM_RSRC2:TGID_Z_EN: 1
; COMPUTE_PGM_RSRC2:TIDIG_COMP_CNT: 1
	.section	.text._ZL25rocblas_symm_scale_kernelILi128ELi8EPKdPdEviiT1_T2_llli,"axG",@progbits,_ZL25rocblas_symm_scale_kernelILi128ELi8EPKdPdEviiT1_T2_llli,comdat
	.globl	_ZL25rocblas_symm_scale_kernelILi128ELi8EPKdPdEviiT1_T2_llli ; -- Begin function _ZL25rocblas_symm_scale_kernelILi128ELi8EPKdPdEviiT1_T2_llli
	.p2align	8
	.type	_ZL25rocblas_symm_scale_kernelILi128ELi8EPKdPdEviiT1_T2_llli,@function
_ZL25rocblas_symm_scale_kernelILi128ELi8EPKdPdEviiT1_T2_llli: ; @_ZL25rocblas_symm_scale_kernelILi128ELi8EPKdPdEviiT1_T2_llli
; %bb.0:
	s_load_dwordx8 s[12:19], s[4:5], 0x8
	s_waitcnt lgkmcnt(0)
	s_load_dwordx2 s[2:3], s[12:13], 0x0
	s_waitcnt lgkmcnt(0)
	v_cmp_eq_f64_e64 s[0:1], s[2:3], 1.0
	s_and_b64 vcc, exec, s[0:1]
	s_cbranch_vccnz .LBB6_7
; %bb.1:
	s_load_dwordx2 s[0:1], s[4:5], 0x0
	v_lshl_add_u32 v2, s6, 7, v0
	v_lshl_add_u32 v0, s7, 3, v1
	v_mov_b32_e32 v1, 0
	s_waitcnt lgkmcnt(0)
	s_ashr_i32 s7, s1, 31
	s_mov_b32 s6, s1
	v_cmp_gt_i64_e32 vcc, s[6:7], v[0:1]
	v_cmp_gt_u32_e64 s[0:1], s0, v2
	s_and_b64 s[0:1], s[0:1], vcc
	s_and_saveexec_b64 s[10:11], s[0:1]
	s_cbranch_execz .LBB6_7
; %bb.2:
	s_load_dwordx2 s[0:1], s[4:5], 0x28
	s_load_dword s9, s[4:5], 0x3c
	v_mad_u64_u32 v[4:5], s[10:11], s18, v0, 0
	v_mov_b32_e32 v3, v1
	s_waitcnt lgkmcnt(0)
	s_mul_i32 s1, s1, s8
	v_mad_u64_u32 v[5:6], s[12:13], s19, v0, v[5:6]
	s_lshl_b32 s10, s9, 3
	s_mul_hi_u32 s9, s0, s8
	s_add_i32 s1, s9, s1
	s_mul_i32 s0, s0, s8
	s_lshl_b64 s[0:1], s[0:1], 3
	s_lshl_b64 s[8:9], s[16:17], 3
	v_lshlrev_b64 v[4:5], 3, v[4:5]
	s_add_u32 s0, s8, s0
	s_addc_u32 s1, s9, s1
	v_mov_b32_e32 v6, s1
	v_add_co_u32_e32 v4, vcc, s0, v4
	s_mul_i32 s0, s19, s10
	s_mul_hi_u32 s1, s18, s10
	s_add_i32 s1, s1, s0
	s_mul_i32 s0, s18, s10
	s_lshl_b64 s[8:9], s[0:1], 3
	v_cmp_neq_f64_e64 s[0:1], s[2:3], 0
	v_lshlrev_b64 v[2:3], 3, v[2:3]
	v_addc_co_u32_e32 v5, vcc, v6, v5, vcc
	v_add_co_u32_e32 v2, vcc, v4, v2
	v_addc_co_u32_e32 v3, vcc, v5, v3, vcc
	v_mov_b32_e32 v4, s15
	v_add_co_u32_e32 v2, vcc, s14, v2
	v_addc_co_u32_e32 v3, vcc, v4, v3, vcc
	v_cndmask_b32_e64 v4, 0, 1, s[0:1]
	s_mov_b64 s[4:5], 0
	v_cmp_ne_u32_e64 s[0:1], 1, v4
	v_mov_b32_e32 v6, s9
	s_branch .LBB6_5
.LBB6_3:                                ;   in Loop: Header=BB6_5 Depth=1
	global_load_dwordx2 v[4:5], v[2:3], off
	s_waitcnt vmcnt(0)
	v_mul_f64 v[4:5], s[2:3], v[4:5]
.LBB6_4:                                ;   in Loop: Header=BB6_5 Depth=1
	v_add_co_u32_e32 v0, vcc, s10, v0
	v_addc_co_u32_e32 v1, vcc, 0, v1, vcc
	v_cmp_le_i64_e32 vcc, s[6:7], v[0:1]
	global_store_dwordx2 v[2:3], v[4:5], off
	s_or_b64 s[4:5], vcc, s[4:5]
	v_add_co_u32_e32 v2, vcc, s8, v2
	v_addc_co_u32_e32 v3, vcc, v3, v6, vcc
	s_andn2_b64 exec, exec, s[4:5]
	s_cbranch_execz .LBB6_7
.LBB6_5:                                ; =>This Inner Loop Header: Depth=1
	s_and_b64 vcc, exec, s[0:1]
	s_cbranch_vccz .LBB6_3
; %bb.6:                                ;   in Loop: Header=BB6_5 Depth=1
	v_mov_b32_e32 v4, 0
	v_mov_b32_e32 v5, 0
	s_branch .LBB6_4
.LBB6_7:
	s_endpgm
	.section	.rodata,"a",@progbits
	.p2align	6, 0x0
	.amdhsa_kernel _ZL25rocblas_symm_scale_kernelILi128ELi8EPKdPdEviiT1_T2_llli
		.amdhsa_group_segment_fixed_size 0
		.amdhsa_private_segment_fixed_size 0
		.amdhsa_kernarg_size 312
		.amdhsa_user_sgpr_count 6
		.amdhsa_user_sgpr_private_segment_buffer 1
		.amdhsa_user_sgpr_dispatch_ptr 0
		.amdhsa_user_sgpr_queue_ptr 0
		.amdhsa_user_sgpr_kernarg_segment_ptr 1
		.amdhsa_user_sgpr_dispatch_id 0
		.amdhsa_user_sgpr_flat_scratch_init 0
		.amdhsa_user_sgpr_private_segment_size 0
		.amdhsa_uses_dynamic_stack 0
		.amdhsa_system_sgpr_private_segment_wavefront_offset 0
		.amdhsa_system_sgpr_workgroup_id_x 1
		.amdhsa_system_sgpr_workgroup_id_y 1
		.amdhsa_system_sgpr_workgroup_id_z 1
		.amdhsa_system_sgpr_workgroup_info 0
		.amdhsa_system_vgpr_workitem_id 1
		.amdhsa_next_free_vgpr 7
		.amdhsa_next_free_sgpr 20
		.amdhsa_reserve_vcc 1
		.amdhsa_reserve_flat_scratch 0
		.amdhsa_float_round_mode_32 0
		.amdhsa_float_round_mode_16_64 0
		.amdhsa_float_denorm_mode_32 3
		.amdhsa_float_denorm_mode_16_64 3
		.amdhsa_dx10_clamp 1
		.amdhsa_ieee_mode 1
		.amdhsa_fp16_overflow 0
		.amdhsa_exception_fp_ieee_invalid_op 0
		.amdhsa_exception_fp_denorm_src 0
		.amdhsa_exception_fp_ieee_div_zero 0
		.amdhsa_exception_fp_ieee_overflow 0
		.amdhsa_exception_fp_ieee_underflow 0
		.amdhsa_exception_fp_ieee_inexact 0
		.amdhsa_exception_int_div_zero 0
	.end_amdhsa_kernel
	.section	.text._ZL25rocblas_symm_scale_kernelILi128ELi8EPKdPdEviiT1_T2_llli,"axG",@progbits,_ZL25rocblas_symm_scale_kernelILi128ELi8EPKdPdEviiT1_T2_llli,comdat
.Lfunc_end6:
	.size	_ZL25rocblas_symm_scale_kernelILi128ELi8EPKdPdEviiT1_T2_llli, .Lfunc_end6-_ZL25rocblas_symm_scale_kernelILi128ELi8EPKdPdEviiT1_T2_llli
                                        ; -- End function
	.set _ZL25rocblas_symm_scale_kernelILi128ELi8EPKdPdEviiT1_T2_llli.num_vgpr, 7
	.set _ZL25rocblas_symm_scale_kernelILi128ELi8EPKdPdEviiT1_T2_llli.num_agpr, 0
	.set _ZL25rocblas_symm_scale_kernelILi128ELi8EPKdPdEviiT1_T2_llli.numbered_sgpr, 20
	.set _ZL25rocblas_symm_scale_kernelILi128ELi8EPKdPdEviiT1_T2_llli.num_named_barrier, 0
	.set _ZL25rocblas_symm_scale_kernelILi128ELi8EPKdPdEviiT1_T2_llli.private_seg_size, 0
	.set _ZL25rocblas_symm_scale_kernelILi128ELi8EPKdPdEviiT1_T2_llli.uses_vcc, 1
	.set _ZL25rocblas_symm_scale_kernelILi128ELi8EPKdPdEviiT1_T2_llli.uses_flat_scratch, 0
	.set _ZL25rocblas_symm_scale_kernelILi128ELi8EPKdPdEviiT1_T2_llli.has_dyn_sized_stack, 0
	.set _ZL25rocblas_symm_scale_kernelILi128ELi8EPKdPdEviiT1_T2_llli.has_recursion, 0
	.set _ZL25rocblas_symm_scale_kernelILi128ELi8EPKdPdEviiT1_T2_llli.has_indirect_call, 0
	.section	.AMDGPU.csdata,"",@progbits
; Kernel info:
; codeLenInByte = 368
; TotalNumSgprs: 24
; NumVgprs: 7
; ScratchSize: 0
; MemoryBound: 1
; FloatMode: 240
; IeeeMode: 1
; LDSByteSize: 0 bytes/workgroup (compile time only)
; SGPRBlocks: 2
; VGPRBlocks: 1
; NumSGPRsForWavesPerEU: 24
; NumVGPRsForWavesPerEU: 7
; Occupancy: 10
; WaveLimiterHint : 0
; COMPUTE_PGM_RSRC2:SCRATCH_EN: 0
; COMPUTE_PGM_RSRC2:USER_SGPR: 6
; COMPUTE_PGM_RSRC2:TRAP_HANDLER: 0
; COMPUTE_PGM_RSRC2:TGID_X_EN: 1
; COMPUTE_PGM_RSRC2:TGID_Y_EN: 1
; COMPUTE_PGM_RSRC2:TGID_Z_EN: 1
; COMPUTE_PGM_RSRC2:TIDIG_COMP_CNT: 1
	.section	.text._ZL24rocblas_symm_hemm_kernelILb0ELb0ELi32EPKdS1_PdEvbiiT2_T3_lllS4_lllT4_llli,"axG",@progbits,_ZL24rocblas_symm_hemm_kernelILb0ELb0ELi32EPKdS1_PdEvbiiT2_T3_lllS4_lllT4_llli,comdat
	.globl	_ZL24rocblas_symm_hemm_kernelILb0ELb0ELi32EPKdS1_PdEvbiiT2_T3_lllS4_lllT4_llli ; -- Begin function _ZL24rocblas_symm_hemm_kernelILb0ELb0ELi32EPKdS1_PdEvbiiT2_T3_lllS4_lllT4_llli
	.p2align	8
	.type	_ZL24rocblas_symm_hemm_kernelILb0ELb0ELi32EPKdS1_PdEvbiiT2_T3_lllS4_lllT4_llli,@function
_ZL24rocblas_symm_hemm_kernelILb0ELb0ELi32EPKdS1_PdEvbiiT2_T3_lllS4_lllT4_llli: ; @_ZL24rocblas_symm_hemm_kernelILb0ELb0ELi32EPKdS1_PdEvbiiT2_T3_lllS4_lllT4_llli
; %bb.0:
	s_load_dwordx16 s[12:27], s[4:5], 0x10
	s_waitcnt lgkmcnt(0)
	s_load_dwordx2 s[10:11], s[12:13], 0x0
	s_waitcnt lgkmcnt(0)
	v_cmp_eq_f64_e64 s[0:1], s[10:11], 0
	s_and_b64 vcc, exec, s[0:1]
	s_cbranch_vccnz .LBB7_13
; %bb.1:
	s_load_dwordx4 s[28:31], s[4:5], 0x0
	s_waitcnt lgkmcnt(0)
	s_add_i32 s0, s30, -1
	s_ashr_i32 s1, s0, 31
	s_lshr_b32 s1, s1, 27
	s_add_i32 s0, s0, s1
	s_ashr_i32 s31, s0, 5
	s_cmp_gt_i32 s7, s31
	s_cbranch_scc1 .LBB7_13
; %bb.2:
	s_mul_i32 s0, s21, s8
	s_mul_hi_u32 s1, s20, s8
	s_add_i32 s1, s1, s0
	s_mul_i32 s0, s20, s8
	s_load_dwordx8 s[36:43], s[4:5], 0x50
	s_load_dwordx2 s[2:3], s[4:5], 0x70
	s_lshl_b64 s[0:1], s[0:1], 3
	s_add_u32 s9, s14, s0
	s_addc_u32 s12, s15, s1
	s_lshl_b64 s[0:1], s[16:17], 3
	s_add_u32 s16, s9, s0
	s_addc_u32 s17, s12, s1
	s_waitcnt lgkmcnt(0)
	s_mul_i32 s0, s37, s8
	s_mul_hi_u32 s1, s36, s8
	s_add_i32 s1, s1, s0
	s_mul_i32 s0, s36, s8
	s_lshl_b64 s[0:1], s[0:1], 3
	s_add_u32 s9, s22, s0
	s_addc_u32 s12, s23, s1
	s_lshl_b64 s[0:1], s[24:25], 3
	s_add_u32 s20, s9, s0
	s_addc_u32 s21, s12, s1
	s_bitcmp1_b32 s28, 0
	s_load_dword s22, s[4:5], 0x84
	s_mul_i32 s3, s3, s8
	s_mul_hi_u32 s4, s2, s8
	s_cselect_b64 s[0:1], -1, 0
	s_add_i32 s3, s4, s3
	s_mul_i32 s2, s2, s8
	s_lshl_b64 s[2:3], s[2:3], 3
	s_add_u32 s4, s38, s2
	s_addc_u32 s5, s39, s3
	s_lshl_b64 s[2:3], s[40:41], 3
	v_lshl_add_u32 v2, s6, 5, v0
	v_lshlrev_b32_e32 v10, 8, v0
	v_lshlrev_b32_e32 v3, 3, v1
	s_add_u32 s4, s4, s2
	v_add_u32_e32 v11, v10, v3
	v_or_b32_e32 v12, 0x2000, v3
	v_ashrrev_i32_e32 v3, 31, v2
	s_addc_u32 s5, s5, s3
	v_lshlrev_b64 v[3:4], 3, v[2:3]
	s_cmp_gt_i32 s29, 0
	v_mov_b32_e32 v5, s5
	v_add_co_u32_e32 v14, vcc, s4, v3
	s_cselect_b64 s[4:5], -1, 0
	v_cndmask_b32_e64 v3, 0, 1, s[4:5]
	v_add_u32_e32 v13, v12, v10
	v_cmp_gt_i32_e64 s[2:3], s29, v2
	v_addc_co_u32_e32 v15, vcc, v5, v4, vcc
	v_cmp_ne_u32_e64 s[4:5], 1, v3
	v_add_u32_e32 v16, 0x800, v12
	v_add_u32_e32 v17, 0x1000, v12
	;; [unrolled: 1-line block ×3, first 2 shown]
	s_branch .LBB7_4
.LBB7_3:                                ;   in Loop: Header=BB7_4 Depth=1
	s_waitcnt lgkmcnt(0)
	s_add_i32 s7, s7, s22
	s_cmp_gt_i32 s7, s31
	s_cbranch_scc1 .LBB7_13
.LBB7_4:                                ; =>This Loop Header: Depth=1
                                        ;     Child Loop BB7_7 Depth 2
	s_and_b64 vcc, exec, s[4:5]
	s_cbranch_vccnz .LBB7_3
; %bb.5:                                ;   in Loop: Header=BB7_4 Depth=1
	v_lshl_add_u32 v5, s7, 5, v1
	v_ashrrev_i32_e32 v6, 31, v5
	v_mul_lo_u32 v7, s26, v6
	v_mul_lo_u32 v8, s27, v5
	v_mad_u64_u32 v[3:4], s[8:9], s26, v5, 0
	v_cmp_gt_i32_e32 vcc, s30, v5
	v_mul_lo_u32 v9, s43, v5
	v_add3_u32 v4, v4, v7, v8
	v_mul_lo_u32 v8, s42, v6
	v_mad_u64_u32 v[5:6], s[8:9], s42, v5, 0
	v_lshlrev_b64 v[3:4], 3, v[3:4]
	v_mov_b32_e32 v7, s21
	v_add_co_u32_e64 v19, s[8:9], s20, v3
	v_add3_u32 v6, v6, v8, v9
	v_addc_co_u32_e64 v20, s[8:9], v7, v4, s[8:9]
	v_lshlrev_b64 v[3:4], 3, v[5:6]
	s_and_b64 s[12:13], s[2:3], vcc
	v_add_co_u32_e64 v3, s[8:9], v14, v3
	v_addc_co_u32_e64 v4, s[8:9], v15, v4, s[8:9]
	s_mov_b32 s6, 0
	s_branch .LBB7_7
.LBB7_6:                                ;   in Loop: Header=BB7_7 Depth=2
	s_or_b64 exec, exec, s[8:9]
	s_add_i32 s6, s6, 32
	s_cmp_ge_i32 s6, s29
	s_waitcnt vmcnt(0)
	s_barrier
	s_cbranch_scc1 .LBB7_3
.LBB7_7:                                ;   Parent Loop BB7_4 Depth=1
                                        ; =>  This Inner Loop Header: Depth=2
	v_add_u32_e32 v5, s6, v1
	v_cndmask_b32_e64 v6, v5, v2, s[0:1]
	v_cndmask_b32_e64 v7, v2, v5, s[0:1]
	v_cmp_gt_i32_e64 s[8:9], v6, v7
	v_cndmask_b32_e64 v7, v2, v5, s[8:9]
	v_cndmask_b32_e64 v21, v5, v2, s[8:9]
	v_max_i32_e32 v22, v7, v21
	v_mov_b32_e32 v5, 0
	v_mov_b32_e32 v8, 0
	;; [unrolled: 1-line block ×4, first 2 shown]
	v_cmp_gt_i32_e64 s[8:9], s29, v22
	s_and_saveexec_b64 s[14:15], s[8:9]
	s_cbranch_execz .LBB7_9
; %bb.8:                                ;   in Loop: Header=BB7_7 Depth=2
	v_ashrrev_i32_e32 v8, 31, v21
	v_mul_lo_u32 v9, s19, v21
	v_mad_u64_u32 v[21:22], s[8:9], s18, v21, 0
	v_mul_lo_u32 v8, s18, v8
	v_add3_u32 v22, v22, v8, v9
	v_lshlrev_b64 v[21:22], 3, v[21:22]
	v_ashrrev_i32_e32 v8, 31, v7
	v_mov_b32_e32 v9, s17
	v_add_co_u32_e64 v21, s[8:9], s16, v21
	v_lshlrev_b64 v[7:8], 3, v[7:8]
	v_addc_co_u32_e64 v9, s[8:9], v9, v22, s[8:9]
	v_add_co_u32_e64 v7, s[8:9], v21, v7
	v_addc_co_u32_e64 v8, s[8:9], v9, v8, s[8:9]
	global_load_dwordx2 v[8:9], v[7:8], off
.LBB7_9:                                ;   in Loop: Header=BB7_7 Depth=2
	s_or_b64 exec, exec, s[14:15]
	v_add_u32_e32 v7, s6, v0
	v_cmp_gt_i32_e64 s[8:9], s29, v7
	s_and_b64 s[8:9], s[8:9], vcc
	s_waitcnt vmcnt(0)
	ds_write_b64 v11, v[8:9]
	s_and_saveexec_b64 s[14:15], s[8:9]
	s_cbranch_execz .LBB7_11
; %bb.10:                               ;   in Loop: Header=BB7_7 Depth=2
	v_ashrrev_i32_e32 v8, 31, v7
	v_lshlrev_b64 v[5:6], 3, v[7:8]
	v_add_co_u32_e64 v5, s[8:9], v19, v5
	v_addc_co_u32_e64 v6, s[8:9], v20, v6, s[8:9]
	global_load_dwordx2 v[5:6], v[5:6], off
.LBB7_11:                               ;   in Loop: Header=BB7_7 Depth=2
	s_or_b64 exec, exec, s[14:15]
	s_waitcnt vmcnt(0)
	ds_write_b64 v13, v[5:6]
	s_waitcnt lgkmcnt(0)
	s_barrier
	s_and_saveexec_b64 s[8:9], s[12:13]
	s_cbranch_execz .LBB7_6
; %bb.12:                               ;   in Loop: Header=BB7_7 Depth=2
	ds_read2_b64 v[5:8], v12 offset1:32
	ds_read_b128 v[21:24], v10
	s_waitcnt lgkmcnt(0)
	v_fma_f64 v[5:6], v[21:22], v[5:6], 0
	v_fma_f64 v[25:26], v[23:24], v[7:8], v[5:6]
	ds_read_b128 v[5:8], v10 offset:16
	ds_read2_b64 v[21:24], v12 offset0:64 offset1:96
	s_waitcnt lgkmcnt(0)
	v_fma_f64 v[5:6], v[5:6], v[21:22], v[25:26]
	v_fma_f64 v[25:26], v[7:8], v[23:24], v[5:6]
	ds_read2_b64 v[5:8], v12 offset0:128 offset1:160
	ds_read_b128 v[21:24], v10 offset:32
	s_waitcnt lgkmcnt(0)
	v_fma_f64 v[5:6], v[21:22], v[5:6], v[25:26]
	v_fma_f64 v[25:26], v[23:24], v[7:8], v[5:6]
	ds_read_b128 v[5:8], v10 offset:48
	ds_read2_b64 v[21:24], v12 offset0:192 offset1:224
	s_waitcnt lgkmcnt(0)
	v_fma_f64 v[5:6], v[5:6], v[21:22], v[25:26]
	v_fma_f64 v[25:26], v[7:8], v[23:24], v[5:6]
	ds_read2_b64 v[5:8], v16 offset1:32
	ds_read_b128 v[21:24], v10 offset:64
	s_waitcnt lgkmcnt(0)
	v_fma_f64 v[5:6], v[21:22], v[5:6], v[25:26]
	v_fma_f64 v[25:26], v[23:24], v[7:8], v[5:6]
	ds_read_b128 v[5:8], v10 offset:80
	ds_read2_b64 v[21:24], v16 offset0:64 offset1:96
	s_waitcnt lgkmcnt(0)
	v_fma_f64 v[5:6], v[5:6], v[21:22], v[25:26]
	v_fma_f64 v[25:26], v[7:8], v[23:24], v[5:6]
	ds_read2_b64 v[5:8], v16 offset0:128 offset1:160
	ds_read_b128 v[21:24], v10 offset:96
	s_waitcnt lgkmcnt(0)
	v_fma_f64 v[5:6], v[21:22], v[5:6], v[25:26]
	v_fma_f64 v[25:26], v[23:24], v[7:8], v[5:6]
	ds_read_b128 v[5:8], v10 offset:112
	ds_read2_b64 v[21:24], v16 offset0:192 offset1:224
	s_waitcnt lgkmcnt(0)
	v_fma_f64 v[5:6], v[5:6], v[21:22], v[25:26]
	v_fma_f64 v[25:26], v[7:8], v[23:24], v[5:6]
	ds_read2_b64 v[5:8], v17 offset1:32
	ds_read_b128 v[21:24], v10 offset:128
	s_waitcnt lgkmcnt(0)
	v_fma_f64 v[5:6], v[21:22], v[5:6], v[25:26]
	v_fma_f64 v[25:26], v[23:24], v[7:8], v[5:6]
	ds_read_b128 v[5:8], v10 offset:144
	ds_read2_b64 v[21:24], v17 offset0:64 offset1:96
	s_waitcnt lgkmcnt(0)
	v_fma_f64 v[5:6], v[5:6], v[21:22], v[25:26]
	v_fma_f64 v[25:26], v[7:8], v[23:24], v[5:6]
	ds_read2_b64 v[5:8], v17 offset0:128 offset1:160
	ds_read_b128 v[21:24], v10 offset:160
	s_waitcnt lgkmcnt(0)
	v_fma_f64 v[5:6], v[21:22], v[5:6], v[25:26]
	v_fma_f64 v[25:26], v[23:24], v[7:8], v[5:6]
	ds_read_b128 v[5:8], v10 offset:176
	ds_read2_b64 v[21:24], v17 offset0:192 offset1:224
	s_waitcnt lgkmcnt(0)
	v_fma_f64 v[5:6], v[5:6], v[21:22], v[25:26]
	global_load_dwordx2 v[25:26], v[3:4], off
	v_fma_f64 v[27:28], v[7:8], v[23:24], v[5:6]
	ds_read2_b64 v[5:8], v18 offset1:32
	ds_read_b128 v[21:24], v10 offset:192
	s_waitcnt lgkmcnt(0)
	v_fma_f64 v[5:6], v[21:22], v[5:6], v[27:28]
	v_fma_f64 v[27:28], v[23:24], v[7:8], v[5:6]
	ds_read_b128 v[5:8], v10 offset:208
	ds_read2_b64 v[21:24], v18 offset0:64 offset1:96
	s_waitcnt lgkmcnt(0)
	v_fma_f64 v[5:6], v[5:6], v[21:22], v[27:28]
	v_fma_f64 v[27:28], v[7:8], v[23:24], v[5:6]
	ds_read2_b64 v[5:8], v18 offset0:128 offset1:160
	ds_read_b128 v[21:24], v10 offset:224
	s_waitcnt lgkmcnt(0)
	v_fma_f64 v[5:6], v[21:22], v[5:6], v[27:28]
	v_fma_f64 v[27:28], v[23:24], v[7:8], v[5:6]
	ds_read_b128 v[5:8], v10 offset:240
	ds_read2_b64 v[21:24], v18 offset0:192 offset1:224
	s_waitcnt lgkmcnt(0)
	v_fma_f64 v[5:6], v[5:6], v[21:22], v[27:28]
	v_fma_f64 v[5:6], v[7:8], v[23:24], v[5:6]
	s_waitcnt vmcnt(0)
	v_fma_f64 v[5:6], s[10:11], v[5:6], v[25:26]
	global_store_dwordx2 v[3:4], v[5:6], off
	s_branch .LBB7_6
.LBB7_13:
	s_endpgm
	.section	.rodata,"a",@progbits
	.p2align	6, 0x0
	.amdhsa_kernel _ZL24rocblas_symm_hemm_kernelILb0ELb0ELi32EPKdS1_PdEvbiiT2_T3_lllS4_lllT4_llli
		.amdhsa_group_segment_fixed_size 16384
		.amdhsa_private_segment_fixed_size 0
		.amdhsa_kernarg_size 384
		.amdhsa_user_sgpr_count 6
		.amdhsa_user_sgpr_private_segment_buffer 1
		.amdhsa_user_sgpr_dispatch_ptr 0
		.amdhsa_user_sgpr_queue_ptr 0
		.amdhsa_user_sgpr_kernarg_segment_ptr 1
		.amdhsa_user_sgpr_dispatch_id 0
		.amdhsa_user_sgpr_flat_scratch_init 0
		.amdhsa_user_sgpr_private_segment_size 0
		.amdhsa_uses_dynamic_stack 0
		.amdhsa_system_sgpr_private_segment_wavefront_offset 0
		.amdhsa_system_sgpr_workgroup_id_x 1
		.amdhsa_system_sgpr_workgroup_id_y 1
		.amdhsa_system_sgpr_workgroup_id_z 1
		.amdhsa_system_sgpr_workgroup_info 0
		.amdhsa_system_vgpr_workitem_id 1
		.amdhsa_next_free_vgpr 29
		.amdhsa_next_free_sgpr 61
		.amdhsa_reserve_vcc 1
		.amdhsa_reserve_flat_scratch 0
		.amdhsa_float_round_mode_32 0
		.amdhsa_float_round_mode_16_64 0
		.amdhsa_float_denorm_mode_32 3
		.amdhsa_float_denorm_mode_16_64 3
		.amdhsa_dx10_clamp 1
		.amdhsa_ieee_mode 1
		.amdhsa_fp16_overflow 0
		.amdhsa_exception_fp_ieee_invalid_op 0
		.amdhsa_exception_fp_denorm_src 0
		.amdhsa_exception_fp_ieee_div_zero 0
		.amdhsa_exception_fp_ieee_overflow 0
		.amdhsa_exception_fp_ieee_underflow 0
		.amdhsa_exception_fp_ieee_inexact 0
		.amdhsa_exception_int_div_zero 0
	.end_amdhsa_kernel
	.section	.text._ZL24rocblas_symm_hemm_kernelILb0ELb0ELi32EPKdS1_PdEvbiiT2_T3_lllS4_lllT4_llli,"axG",@progbits,_ZL24rocblas_symm_hemm_kernelILb0ELb0ELi32EPKdS1_PdEvbiiT2_T3_lllS4_lllT4_llli,comdat
.Lfunc_end7:
	.size	_ZL24rocblas_symm_hemm_kernelILb0ELb0ELi32EPKdS1_PdEvbiiT2_T3_lllS4_lllT4_llli, .Lfunc_end7-_ZL24rocblas_symm_hemm_kernelILb0ELb0ELi32EPKdS1_PdEvbiiT2_T3_lllS4_lllT4_llli
                                        ; -- End function
	.set _ZL24rocblas_symm_hemm_kernelILb0ELb0ELi32EPKdS1_PdEvbiiT2_T3_lllS4_lllT4_llli.num_vgpr, 29
	.set _ZL24rocblas_symm_hemm_kernelILb0ELb0ELi32EPKdS1_PdEvbiiT2_T3_lllS4_lllT4_llli.num_agpr, 0
	.set _ZL24rocblas_symm_hemm_kernelILb0ELb0ELi32EPKdS1_PdEvbiiT2_T3_lllS4_lllT4_llli.numbered_sgpr, 44
	.set _ZL24rocblas_symm_hemm_kernelILb0ELb0ELi32EPKdS1_PdEvbiiT2_T3_lllS4_lllT4_llli.num_named_barrier, 0
	.set _ZL24rocblas_symm_hemm_kernelILb0ELb0ELi32EPKdS1_PdEvbiiT2_T3_lllS4_lllT4_llli.private_seg_size, 0
	.set _ZL24rocblas_symm_hemm_kernelILb0ELb0ELi32EPKdS1_PdEvbiiT2_T3_lllS4_lllT4_llli.uses_vcc, 1
	.set _ZL24rocblas_symm_hemm_kernelILb0ELb0ELi32EPKdS1_PdEvbiiT2_T3_lllS4_lllT4_llli.uses_flat_scratch, 0
	.set _ZL24rocblas_symm_hemm_kernelILb0ELb0ELi32EPKdS1_PdEvbiiT2_T3_lllS4_lllT4_llli.has_dyn_sized_stack, 0
	.set _ZL24rocblas_symm_hemm_kernelILb0ELb0ELi32EPKdS1_PdEvbiiT2_T3_lllS4_lllT4_llli.has_recursion, 0
	.set _ZL24rocblas_symm_hemm_kernelILb0ELb0ELi32EPKdS1_PdEvbiiT2_T3_lllS4_lllT4_llli.has_indirect_call, 0
	.section	.AMDGPU.csdata,"",@progbits
; Kernel info:
; codeLenInByte = 1444
; TotalNumSgprs: 48
; NumVgprs: 29
; ScratchSize: 0
; MemoryBound: 0
; FloatMode: 240
; IeeeMode: 1
; LDSByteSize: 16384 bytes/workgroup (compile time only)
; SGPRBlocks: 8
; VGPRBlocks: 7
; NumSGPRsForWavesPerEU: 65
; NumVGPRsForWavesPerEU: 29
; Occupancy: 8
; WaveLimiterHint : 0
; COMPUTE_PGM_RSRC2:SCRATCH_EN: 0
; COMPUTE_PGM_RSRC2:USER_SGPR: 6
; COMPUTE_PGM_RSRC2:TRAP_HANDLER: 0
; COMPUTE_PGM_RSRC2:TGID_X_EN: 1
; COMPUTE_PGM_RSRC2:TGID_Y_EN: 1
; COMPUTE_PGM_RSRC2:TGID_Z_EN: 1
; COMPUTE_PGM_RSRC2:TIDIG_COMP_CNT: 1
	.section	.text._ZL24rocblas_symm_hemm_kernelILb0ELb1ELi32EPKdS1_PdEvbiiT2_T3_lllS4_lllT4_llli,"axG",@progbits,_ZL24rocblas_symm_hemm_kernelILb0ELb1ELi32EPKdS1_PdEvbiiT2_T3_lllS4_lllT4_llli,comdat
	.globl	_ZL24rocblas_symm_hemm_kernelILb0ELb1ELi32EPKdS1_PdEvbiiT2_T3_lllS4_lllT4_llli ; -- Begin function _ZL24rocblas_symm_hemm_kernelILb0ELb1ELi32EPKdS1_PdEvbiiT2_T3_lllS4_lllT4_llli
	.p2align	8
	.type	_ZL24rocblas_symm_hemm_kernelILb0ELb1ELi32EPKdS1_PdEvbiiT2_T3_lllS4_lllT4_llli,@function
_ZL24rocblas_symm_hemm_kernelILb0ELb1ELi32EPKdS1_PdEvbiiT2_T3_lllS4_lllT4_llli: ; @_ZL24rocblas_symm_hemm_kernelILb0ELb1ELi32EPKdS1_PdEvbiiT2_T3_lllS4_lllT4_llli
; %bb.0:
	s_load_dwordx16 s[12:27], s[4:5], 0x10
	s_waitcnt lgkmcnt(0)
	s_load_dwordx2 s[10:11], s[12:13], 0x0
	s_waitcnt lgkmcnt(0)
	v_cmp_eq_f64_e64 s[0:1], s[10:11], 0
	s_and_b64 vcc, exec, s[0:1]
	s_cbranch_vccnz .LBB8_13
; %bb.1:
	s_load_dwordx4 s[28:31], s[4:5], 0x0
	s_waitcnt lgkmcnt(0)
	s_add_i32 s0, s30, -1
	s_ashr_i32 s1, s0, 31
	s_lshr_b32 s1, s1, 27
	s_add_i32 s0, s0, s1
	s_ashr_i32 s31, s0, 5
	s_cmp_gt_i32 s7, s31
	s_cbranch_scc1 .LBB8_13
; %bb.2:
	s_mul_i32 s0, s21, s8
	s_mul_hi_u32 s1, s20, s8
	s_add_i32 s1, s1, s0
	s_mul_i32 s0, s20, s8
	s_lshl_b64 s[0:1], s[0:1], 3
	s_add_u32 s2, s14, s0
	s_addc_u32 s3, s15, s1
	s_lshl_b64 s[0:1], s[16:17], 3
	s_add_u32 s14, s2, s0
	s_addc_u32 s15, s3, s1
	s_load_dwordx2 s[2:3], s[4:5], 0x70
	s_load_dwordx8 s[36:43], s[4:5], 0x50
	s_load_dword s16, s[4:5], 0x84
	s_bitcmp1_b32 s28, 0
	s_cselect_b64 s[0:1], -1, 0
	v_lshl_add_u32 v2, s6, 5, v0
	s_waitcnt lgkmcnt(0)
	s_mul_i32 s3, s3, s8
	s_mul_hi_u32 s4, s2, s8
	s_add_i32 s3, s4, s3
	s_mul_i32 s2, s2, s8
	s_lshl_b64 s[2:3], s[2:3], 3
	s_add_u32 s4, s38, s2
	s_addc_u32 s5, s39, s3
	s_lshl_b64 s[2:3], s[40:41], 3
	s_add_u32 s4, s4, s2
	s_addc_u32 s5, s5, s3
	s_mul_i32 s2, s37, s8
	s_mul_hi_u32 s3, s36, s8
	s_add_i32 s3, s3, s2
	s_mul_i32 s2, s36, s8
	s_lshl_b64 s[2:3], s[2:3], 3
	s_add_u32 s8, s22, s2
	s_addc_u32 s9, s23, s3
	s_lshl_b64 s[2:3], s[24:25], 3
	s_add_u32 s8, s8, s2
	v_ashrrev_i32_e32 v3, 31, v2
	s_addc_u32 s9, s9, s3
	v_cmp_gt_i32_e64 s[2:3], s29, v2
	v_lshlrev_b64 v[2:3], 3, v[2:3]
	v_mov_b32_e32 v4, s9
	v_add_co_u32_e32 v8, vcc, s8, v2
	s_cmp_gt_i32 s30, 0
	v_addc_co_u32_e32 v9, vcc, v4, v3, vcc
	v_lshlrev_b32_e32 v10, 8, v0
	v_lshlrev_b32_e32 v4, 3, v1
	v_add_u32_e32 v11, v10, v4
	v_or_b32_e32 v12, 0x2000, v4
	v_mov_b32_e32 v4, s5
	v_add_co_u32_e32 v14, vcc, s4, v2
	s_cselect_b64 s[4:5], -1, 0
	v_cndmask_b32_e64 v2, 0, 1, s[4:5]
	v_add_u32_e32 v13, v12, v10
	v_addc_co_u32_e32 v15, vcc, v4, v3, vcc
	v_cmp_ne_u32_e64 s[4:5], 1, v2
	v_add_u32_e32 v16, 0x800, v12
	v_add_u32_e32 v17, 0x1000, v12
	;; [unrolled: 1-line block ×3, first 2 shown]
	s_branch .LBB8_4
.LBB8_3:                                ;   in Loop: Header=BB8_4 Depth=1
	s_add_i32 s7, s7, s16
	s_cmp_gt_i32 s7, s31
	s_cbranch_scc1 .LBB8_13
.LBB8_4:                                ; =>This Loop Header: Depth=1
                                        ;     Child Loop BB8_7 Depth 2
	s_and_b64 vcc, exec, s[4:5]
	s_cbranch_vccnz .LBB8_3
; %bb.5:                                ;   in Loop: Header=BB8_4 Depth=1
	v_lshl_add_u32 v19, s7, 5, v1
	v_ashrrev_i32_e32 v2, 31, v19
	v_mul_lo_u32 v4, s42, v2
	v_mul_lo_u32 v5, s43, v19
	v_mad_u64_u32 v[2:3], s[8:9], s42, v19, 0
	v_cmp_gt_i32_e32 vcc, s30, v19
	s_and_b64 s[8:9], s[2:3], vcc
	v_add3_u32 v3, v3, v4, v5
	v_lshlrev_b64 v[2:3], 3, v[2:3]
	s_mov_b32 s6, 0
	v_add_co_u32_e32 v2, vcc, v14, v2
	v_addc_co_u32_e32 v3, vcc, v15, v3, vcc
	s_branch .LBB8_7
.LBB8_6:                                ;   in Loop: Header=BB8_7 Depth=2
	s_or_b64 exec, exec, s[12:13]
	s_add_i32 s6, s6, 32
	s_cmp_ge_i32 s6, s30
	s_waitcnt vmcnt(0)
	s_barrier
	s_cbranch_scc1 .LBB8_3
.LBB8_7:                                ;   Parent Loop BB8_4 Depth=1
                                        ; =>  This Inner Loop Header: Depth=2
	v_add_u32_e32 v20, s6, v1
	v_cmp_gt_i32_e32 vcc, s30, v20
	v_mov_b32_e32 v4, 0
	v_mov_b32_e32 v6, 0
	;; [unrolled: 1-line block ×4, first 2 shown]
	s_and_b64 s[20:21], s[2:3], vcc
	s_and_saveexec_b64 s[12:13], s[20:21]
	s_cbranch_execz .LBB8_9
; %bb.8:                                ;   in Loop: Header=BB8_7 Depth=2
	v_ashrrev_i32_e32 v21, 31, v20
	v_mul_lo_u32 v22, s27, v20
	v_mad_u64_u32 v[6:7], s[20:21], s26, v20, 0
	v_mul_lo_u32 v20, s26, v21
	v_add3_u32 v7, v7, v20, v22
	v_lshlrev_b64 v[6:7], 3, v[6:7]
	v_add_co_u32_e32 v6, vcc, v8, v6
	v_addc_co_u32_e32 v7, vcc, v9, v7, vcc
	global_load_dwordx2 v[6:7], v[6:7], off
.LBB8_9:                                ;   in Loop: Header=BB8_7 Depth=2
	s_or_b64 exec, exec, s[12:13]
	s_waitcnt vmcnt(0)
	ds_write_b64 v11, v[6:7]
	v_add_u32_e32 v7, s6, v0
	v_cndmask_b32_e64 v6, v19, v7, s[0:1]
	v_cndmask_b32_e64 v20, v7, v19, s[0:1]
	v_cmp_gt_i32_e32 vcc, v6, v20
	v_cndmask_b32_e32 v6, v7, v19, vcc
	v_cndmask_b32_e32 v7, v19, v7, vcc
	v_max_i32_e32 v20, v6, v7
	v_cmp_gt_i32_e32 vcc, s30, v20
	s_and_saveexec_b64 s[12:13], vcc
	s_cbranch_execz .LBB8_11
; %bb.10:                               ;   in Loop: Header=BB8_7 Depth=2
	v_ashrrev_i32_e32 v20, 31, v7
	v_mul_lo_u32 v21, s19, v7
	v_mad_u64_u32 v[4:5], s[20:21], s18, v7, 0
	v_mul_lo_u32 v7, s18, v20
	v_mov_b32_e32 v20, s15
	v_add3_u32 v5, v5, v7, v21
	v_lshlrev_b64 v[4:5], 3, v[4:5]
	v_ashrrev_i32_e32 v7, 31, v6
	v_add_co_u32_e32 v21, vcc, s14, v4
	v_addc_co_u32_e32 v20, vcc, v20, v5, vcc
	v_lshlrev_b64 v[4:5], 3, v[6:7]
	v_add_co_u32_e32 v4, vcc, v21, v4
	v_addc_co_u32_e32 v5, vcc, v20, v5, vcc
	global_load_dwordx2 v[4:5], v[4:5], off
.LBB8_11:                               ;   in Loop: Header=BB8_7 Depth=2
	s_or_b64 exec, exec, s[12:13]
	s_waitcnt vmcnt(0)
	ds_write_b64 v13, v[4:5]
	s_waitcnt lgkmcnt(0)
	s_barrier
	s_and_saveexec_b64 s[12:13], s[8:9]
	s_cbranch_execz .LBB8_6
; %bb.12:                               ;   in Loop: Header=BB8_7 Depth=2
	ds_read2_b64 v[4:7], v12 offset1:32
	ds_read_b128 v[20:23], v10
	s_waitcnt lgkmcnt(0)
	v_fma_f64 v[4:5], v[20:21], v[4:5], 0
	v_fma_f64 v[24:25], v[22:23], v[6:7], v[4:5]
	ds_read_b128 v[4:7], v10 offset:16
	ds_read2_b64 v[20:23], v12 offset0:64 offset1:96
	s_waitcnt lgkmcnt(0)
	v_fma_f64 v[4:5], v[4:5], v[20:21], v[24:25]
	v_fma_f64 v[24:25], v[6:7], v[22:23], v[4:5]
	ds_read2_b64 v[4:7], v12 offset0:128 offset1:160
	ds_read_b128 v[20:23], v10 offset:32
	s_waitcnt lgkmcnt(0)
	v_fma_f64 v[4:5], v[20:21], v[4:5], v[24:25]
	v_fma_f64 v[24:25], v[22:23], v[6:7], v[4:5]
	ds_read_b128 v[4:7], v10 offset:48
	ds_read2_b64 v[20:23], v12 offset0:192 offset1:224
	s_waitcnt lgkmcnt(0)
	v_fma_f64 v[4:5], v[4:5], v[20:21], v[24:25]
	v_fma_f64 v[24:25], v[6:7], v[22:23], v[4:5]
	ds_read2_b64 v[4:7], v16 offset1:32
	ds_read_b128 v[20:23], v10 offset:64
	s_waitcnt lgkmcnt(0)
	v_fma_f64 v[4:5], v[20:21], v[4:5], v[24:25]
	v_fma_f64 v[24:25], v[22:23], v[6:7], v[4:5]
	ds_read_b128 v[4:7], v10 offset:80
	ds_read2_b64 v[20:23], v16 offset0:64 offset1:96
	s_waitcnt lgkmcnt(0)
	v_fma_f64 v[4:5], v[4:5], v[20:21], v[24:25]
	v_fma_f64 v[24:25], v[6:7], v[22:23], v[4:5]
	ds_read2_b64 v[4:7], v16 offset0:128 offset1:160
	ds_read_b128 v[20:23], v10 offset:96
	s_waitcnt lgkmcnt(0)
	v_fma_f64 v[4:5], v[20:21], v[4:5], v[24:25]
	v_fma_f64 v[24:25], v[22:23], v[6:7], v[4:5]
	ds_read_b128 v[4:7], v10 offset:112
	ds_read2_b64 v[20:23], v16 offset0:192 offset1:224
	s_waitcnt lgkmcnt(0)
	v_fma_f64 v[4:5], v[4:5], v[20:21], v[24:25]
	v_fma_f64 v[24:25], v[6:7], v[22:23], v[4:5]
	ds_read2_b64 v[4:7], v17 offset1:32
	ds_read_b128 v[20:23], v10 offset:128
	s_waitcnt lgkmcnt(0)
	v_fma_f64 v[4:5], v[20:21], v[4:5], v[24:25]
	v_fma_f64 v[24:25], v[22:23], v[6:7], v[4:5]
	ds_read_b128 v[4:7], v10 offset:144
	ds_read2_b64 v[20:23], v17 offset0:64 offset1:96
	s_waitcnt lgkmcnt(0)
	v_fma_f64 v[4:5], v[4:5], v[20:21], v[24:25]
	v_fma_f64 v[24:25], v[6:7], v[22:23], v[4:5]
	ds_read2_b64 v[4:7], v17 offset0:128 offset1:160
	ds_read_b128 v[20:23], v10 offset:160
	s_waitcnt lgkmcnt(0)
	v_fma_f64 v[4:5], v[20:21], v[4:5], v[24:25]
	v_fma_f64 v[24:25], v[22:23], v[6:7], v[4:5]
	ds_read_b128 v[4:7], v10 offset:176
	ds_read2_b64 v[20:23], v17 offset0:192 offset1:224
	s_waitcnt lgkmcnt(0)
	v_fma_f64 v[4:5], v[4:5], v[20:21], v[24:25]
	global_load_dwordx2 v[24:25], v[2:3], off
	v_fma_f64 v[26:27], v[6:7], v[22:23], v[4:5]
	ds_read2_b64 v[4:7], v18 offset1:32
	ds_read_b128 v[20:23], v10 offset:192
	s_waitcnt lgkmcnt(0)
	v_fma_f64 v[4:5], v[20:21], v[4:5], v[26:27]
	v_fma_f64 v[26:27], v[22:23], v[6:7], v[4:5]
	ds_read_b128 v[4:7], v10 offset:208
	ds_read2_b64 v[20:23], v18 offset0:64 offset1:96
	s_waitcnt lgkmcnt(0)
	v_fma_f64 v[4:5], v[4:5], v[20:21], v[26:27]
	v_fma_f64 v[26:27], v[6:7], v[22:23], v[4:5]
	ds_read2_b64 v[4:7], v18 offset0:128 offset1:160
	ds_read_b128 v[20:23], v10 offset:224
	s_waitcnt lgkmcnt(0)
	v_fma_f64 v[4:5], v[20:21], v[4:5], v[26:27]
	v_fma_f64 v[26:27], v[22:23], v[6:7], v[4:5]
	ds_read_b128 v[4:7], v10 offset:240
	ds_read2_b64 v[20:23], v18 offset0:192 offset1:224
	s_waitcnt lgkmcnt(0)
	v_fma_f64 v[4:5], v[4:5], v[20:21], v[26:27]
	v_fma_f64 v[4:5], v[6:7], v[22:23], v[4:5]
	s_waitcnt vmcnt(0)
	v_fma_f64 v[4:5], s[10:11], v[4:5], v[24:25]
	global_store_dwordx2 v[2:3], v[4:5], off
	s_branch .LBB8_6
.LBB8_13:
	s_endpgm
	.section	.rodata,"a",@progbits
	.p2align	6, 0x0
	.amdhsa_kernel _ZL24rocblas_symm_hemm_kernelILb0ELb1ELi32EPKdS1_PdEvbiiT2_T3_lllS4_lllT4_llli
		.amdhsa_group_segment_fixed_size 16384
		.amdhsa_private_segment_fixed_size 0
		.amdhsa_kernarg_size 384
		.amdhsa_user_sgpr_count 6
		.amdhsa_user_sgpr_private_segment_buffer 1
		.amdhsa_user_sgpr_dispatch_ptr 0
		.amdhsa_user_sgpr_queue_ptr 0
		.amdhsa_user_sgpr_kernarg_segment_ptr 1
		.amdhsa_user_sgpr_dispatch_id 0
		.amdhsa_user_sgpr_flat_scratch_init 0
		.amdhsa_user_sgpr_private_segment_size 0
		.amdhsa_uses_dynamic_stack 0
		.amdhsa_system_sgpr_private_segment_wavefront_offset 0
		.amdhsa_system_sgpr_workgroup_id_x 1
		.amdhsa_system_sgpr_workgroup_id_y 1
		.amdhsa_system_sgpr_workgroup_id_z 1
		.amdhsa_system_sgpr_workgroup_info 0
		.amdhsa_system_vgpr_workitem_id 1
		.amdhsa_next_free_vgpr 29
		.amdhsa_next_free_sgpr 61
		.amdhsa_reserve_vcc 1
		.amdhsa_reserve_flat_scratch 0
		.amdhsa_float_round_mode_32 0
		.amdhsa_float_round_mode_16_64 0
		.amdhsa_float_denorm_mode_32 3
		.amdhsa_float_denorm_mode_16_64 3
		.amdhsa_dx10_clamp 1
		.amdhsa_ieee_mode 1
		.amdhsa_fp16_overflow 0
		.amdhsa_exception_fp_ieee_invalid_op 0
		.amdhsa_exception_fp_denorm_src 0
		.amdhsa_exception_fp_ieee_div_zero 0
		.amdhsa_exception_fp_ieee_overflow 0
		.amdhsa_exception_fp_ieee_underflow 0
		.amdhsa_exception_fp_ieee_inexact 0
		.amdhsa_exception_int_div_zero 0
	.end_amdhsa_kernel
	.section	.text._ZL24rocblas_symm_hemm_kernelILb0ELb1ELi32EPKdS1_PdEvbiiT2_T3_lllS4_lllT4_llli,"axG",@progbits,_ZL24rocblas_symm_hemm_kernelILb0ELb1ELi32EPKdS1_PdEvbiiT2_T3_lllS4_lllT4_llli,comdat
.Lfunc_end8:
	.size	_ZL24rocblas_symm_hemm_kernelILb0ELb1ELi32EPKdS1_PdEvbiiT2_T3_lllS4_lllT4_llli, .Lfunc_end8-_ZL24rocblas_symm_hemm_kernelILb0ELb1ELi32EPKdS1_PdEvbiiT2_T3_lllS4_lllT4_llli
                                        ; -- End function
	.set _ZL24rocblas_symm_hemm_kernelILb0ELb1ELi32EPKdS1_PdEvbiiT2_T3_lllS4_lllT4_llli.num_vgpr, 28
	.set _ZL24rocblas_symm_hemm_kernelILb0ELb1ELi32EPKdS1_PdEvbiiT2_T3_lllS4_lllT4_llli.num_agpr, 0
	.set _ZL24rocblas_symm_hemm_kernelILb0ELb1ELi32EPKdS1_PdEvbiiT2_T3_lllS4_lllT4_llli.numbered_sgpr, 44
	.set _ZL24rocblas_symm_hemm_kernelILb0ELb1ELi32EPKdS1_PdEvbiiT2_T3_lllS4_lllT4_llli.num_named_barrier, 0
	.set _ZL24rocblas_symm_hemm_kernelILb0ELb1ELi32EPKdS1_PdEvbiiT2_T3_lllS4_lllT4_llli.private_seg_size, 0
	.set _ZL24rocblas_symm_hemm_kernelILb0ELb1ELi32EPKdS1_PdEvbiiT2_T3_lllS4_lllT4_llli.uses_vcc, 1
	.set _ZL24rocblas_symm_hemm_kernelILb0ELb1ELi32EPKdS1_PdEvbiiT2_T3_lllS4_lllT4_llli.uses_flat_scratch, 0
	.set _ZL24rocblas_symm_hemm_kernelILb0ELb1ELi32EPKdS1_PdEvbiiT2_T3_lllS4_lllT4_llli.has_dyn_sized_stack, 0
	.set _ZL24rocblas_symm_hemm_kernelILb0ELb1ELi32EPKdS1_PdEvbiiT2_T3_lllS4_lllT4_llli.has_recursion, 0
	.set _ZL24rocblas_symm_hemm_kernelILb0ELb1ELi32EPKdS1_PdEvbiiT2_T3_lllS4_lllT4_llli.has_indirect_call, 0
	.section	.AMDGPU.csdata,"",@progbits
; Kernel info:
; codeLenInByte = 1372
; TotalNumSgprs: 48
; NumVgprs: 28
; ScratchSize: 0
; MemoryBound: 0
; FloatMode: 240
; IeeeMode: 1
; LDSByteSize: 16384 bytes/workgroup (compile time only)
; SGPRBlocks: 8
; VGPRBlocks: 7
; NumSGPRsForWavesPerEU: 65
; NumVGPRsForWavesPerEU: 29
; Occupancy: 8
; WaveLimiterHint : 0
; COMPUTE_PGM_RSRC2:SCRATCH_EN: 0
; COMPUTE_PGM_RSRC2:USER_SGPR: 6
; COMPUTE_PGM_RSRC2:TRAP_HANDLER: 0
; COMPUTE_PGM_RSRC2:TGID_X_EN: 1
; COMPUTE_PGM_RSRC2:TGID_Y_EN: 1
; COMPUTE_PGM_RSRC2:TGID_Z_EN: 1
; COMPUTE_PGM_RSRC2:TIDIG_COMP_CNT: 1
	.section	.text._ZL25rocblas_symm_scale_kernelILi128ELi8EdPdEviiT1_T2_llli,"axG",@progbits,_ZL25rocblas_symm_scale_kernelILi128ELi8EdPdEviiT1_T2_llli,comdat
	.globl	_ZL25rocblas_symm_scale_kernelILi128ELi8EdPdEviiT1_T2_llli ; -- Begin function _ZL25rocblas_symm_scale_kernelILi128ELi8EdPdEviiT1_T2_llli
	.p2align	8
	.type	_ZL25rocblas_symm_scale_kernelILi128ELi8EdPdEviiT1_T2_llli,@function
_ZL25rocblas_symm_scale_kernelILi128ELi8EdPdEviiT1_T2_llli: ; @_ZL25rocblas_symm_scale_kernelILi128ELi8EdPdEviiT1_T2_llli
; %bb.0:
	s_load_dwordx8 s[12:19], s[4:5], 0x8
	s_waitcnt lgkmcnt(0)
	v_cmp_eq_f64_e64 s[0:1], s[12:13], 1.0
	s_and_b64 vcc, exec, s[0:1]
	s_cbranch_vccnz .LBB9_7
; %bb.1:
	s_load_dwordx2 s[0:1], s[4:5], 0x0
	v_lshl_add_u32 v2, s6, 7, v0
	v_lshl_add_u32 v0, s7, 3, v1
	v_mov_b32_e32 v1, 0
	s_waitcnt lgkmcnt(0)
	s_ashr_i32 s3, s1, 31
	s_mov_b32 s2, s1
	v_cmp_gt_i64_e32 vcc, s[2:3], v[0:1]
	v_cmp_gt_u32_e64 s[0:1], s0, v2
	s_and_b64 s[0:1], s[0:1], vcc
	s_and_saveexec_b64 s[6:7], s[0:1]
	s_cbranch_execz .LBB9_7
; %bb.2:
	v_mad_u64_u32 v[4:5], s[6:7], s18, v0, 0
	s_load_dwordx2 s[0:1], s[4:5], 0x28
	s_load_dword s9, s[4:5], 0x3c
	v_mov_b32_e32 v3, v1
	v_mad_u64_u32 v[5:6], s[6:7], s19, v0, v[5:6]
	s_waitcnt lgkmcnt(0)
	s_mul_i32 s1, s1, s8
	s_mul_hi_u32 s10, s0, s8
	s_add_i32 s1, s10, s1
	s_mul_i32 s0, s0, s8
	s_lshl_b32 s9, s9, 3
	s_lshl_b64 s[0:1], s[0:1], 3
	s_lshl_b64 s[6:7], s[16:17], 3
	v_lshlrev_b64 v[4:5], 3, v[4:5]
	s_add_u32 s0, s6, s0
	s_addc_u32 s1, s7, s1
	v_mov_b32_e32 v6, s1
	v_add_co_u32_e32 v4, vcc, s0, v4
	s_mul_i32 s0, s19, s9
	s_mul_hi_u32 s1, s18, s9
	s_add_i32 s1, s1, s0
	s_mul_i32 s0, s18, s9
	s_lshl_b64 s[6:7], s[0:1], 3
	v_cmp_neq_f64_e64 s[0:1], s[12:13], 0
	v_lshlrev_b64 v[2:3], 3, v[2:3]
	v_addc_co_u32_e32 v5, vcc, v6, v5, vcc
	v_add_co_u32_e32 v2, vcc, v4, v2
	v_addc_co_u32_e32 v3, vcc, v5, v3, vcc
	v_mov_b32_e32 v4, s15
	v_add_co_u32_e32 v2, vcc, s14, v2
	v_addc_co_u32_e32 v3, vcc, v4, v3, vcc
	v_cndmask_b32_e64 v4, 0, 1, s[0:1]
	s_mov_b64 s[4:5], 0
	v_cmp_ne_u32_e64 s[0:1], 1, v4
	v_mov_b32_e32 v6, s7
	s_branch .LBB9_5
.LBB9_3:                                ;   in Loop: Header=BB9_5 Depth=1
	global_load_dwordx2 v[4:5], v[2:3], off
	s_waitcnt vmcnt(0)
	v_mul_f64 v[4:5], s[12:13], v[4:5]
.LBB9_4:                                ;   in Loop: Header=BB9_5 Depth=1
	v_add_co_u32_e32 v0, vcc, s9, v0
	v_addc_co_u32_e32 v1, vcc, 0, v1, vcc
	v_cmp_le_i64_e32 vcc, s[2:3], v[0:1]
	global_store_dwordx2 v[2:3], v[4:5], off
	s_or_b64 s[4:5], vcc, s[4:5]
	v_add_co_u32_e32 v2, vcc, s6, v2
	v_addc_co_u32_e32 v3, vcc, v3, v6, vcc
	s_andn2_b64 exec, exec, s[4:5]
	s_cbranch_execz .LBB9_7
.LBB9_5:                                ; =>This Inner Loop Header: Depth=1
	s_and_b64 vcc, exec, s[0:1]
	s_cbranch_vccz .LBB9_3
; %bb.6:                                ;   in Loop: Header=BB9_5 Depth=1
	v_mov_b32_e32 v4, 0
	v_mov_b32_e32 v5, 0
	s_branch .LBB9_4
.LBB9_7:
	s_endpgm
	.section	.rodata,"a",@progbits
	.p2align	6, 0x0
	.amdhsa_kernel _ZL25rocblas_symm_scale_kernelILi128ELi8EdPdEviiT1_T2_llli
		.amdhsa_group_segment_fixed_size 0
		.amdhsa_private_segment_fixed_size 0
		.amdhsa_kernarg_size 312
		.amdhsa_user_sgpr_count 6
		.amdhsa_user_sgpr_private_segment_buffer 1
		.amdhsa_user_sgpr_dispatch_ptr 0
		.amdhsa_user_sgpr_queue_ptr 0
		.amdhsa_user_sgpr_kernarg_segment_ptr 1
		.amdhsa_user_sgpr_dispatch_id 0
		.amdhsa_user_sgpr_flat_scratch_init 0
		.amdhsa_user_sgpr_private_segment_size 0
		.amdhsa_uses_dynamic_stack 0
		.amdhsa_system_sgpr_private_segment_wavefront_offset 0
		.amdhsa_system_sgpr_workgroup_id_x 1
		.amdhsa_system_sgpr_workgroup_id_y 1
		.amdhsa_system_sgpr_workgroup_id_z 1
		.amdhsa_system_sgpr_workgroup_info 0
		.amdhsa_system_vgpr_workitem_id 1
		.amdhsa_next_free_vgpr 7
		.amdhsa_next_free_sgpr 20
		.amdhsa_reserve_vcc 1
		.amdhsa_reserve_flat_scratch 0
		.amdhsa_float_round_mode_32 0
		.amdhsa_float_round_mode_16_64 0
		.amdhsa_float_denorm_mode_32 3
		.amdhsa_float_denorm_mode_16_64 3
		.amdhsa_dx10_clamp 1
		.amdhsa_ieee_mode 1
		.amdhsa_fp16_overflow 0
		.amdhsa_exception_fp_ieee_invalid_op 0
		.amdhsa_exception_fp_denorm_src 0
		.amdhsa_exception_fp_ieee_div_zero 0
		.amdhsa_exception_fp_ieee_overflow 0
		.amdhsa_exception_fp_ieee_underflow 0
		.amdhsa_exception_fp_ieee_inexact 0
		.amdhsa_exception_int_div_zero 0
	.end_amdhsa_kernel
	.section	.text._ZL25rocblas_symm_scale_kernelILi128ELi8EdPdEviiT1_T2_llli,"axG",@progbits,_ZL25rocblas_symm_scale_kernelILi128ELi8EdPdEviiT1_T2_llli,comdat
.Lfunc_end9:
	.size	_ZL25rocblas_symm_scale_kernelILi128ELi8EdPdEviiT1_T2_llli, .Lfunc_end9-_ZL25rocblas_symm_scale_kernelILi128ELi8EdPdEviiT1_T2_llli
                                        ; -- End function
	.set _ZL25rocblas_symm_scale_kernelILi128ELi8EdPdEviiT1_T2_llli.num_vgpr, 7
	.set _ZL25rocblas_symm_scale_kernelILi128ELi8EdPdEviiT1_T2_llli.num_agpr, 0
	.set _ZL25rocblas_symm_scale_kernelILi128ELi8EdPdEviiT1_T2_llli.numbered_sgpr, 20
	.set _ZL25rocblas_symm_scale_kernelILi128ELi8EdPdEviiT1_T2_llli.num_named_barrier, 0
	.set _ZL25rocblas_symm_scale_kernelILi128ELi8EdPdEviiT1_T2_llli.private_seg_size, 0
	.set _ZL25rocblas_symm_scale_kernelILi128ELi8EdPdEviiT1_T2_llli.uses_vcc, 1
	.set _ZL25rocblas_symm_scale_kernelILi128ELi8EdPdEviiT1_T2_llli.uses_flat_scratch, 0
	.set _ZL25rocblas_symm_scale_kernelILi128ELi8EdPdEviiT1_T2_llli.has_dyn_sized_stack, 0
	.set _ZL25rocblas_symm_scale_kernelILi128ELi8EdPdEviiT1_T2_llli.has_recursion, 0
	.set _ZL25rocblas_symm_scale_kernelILi128ELi8EdPdEviiT1_T2_llli.has_indirect_call, 0
	.section	.AMDGPU.csdata,"",@progbits
; Kernel info:
; codeLenInByte = 356
; TotalNumSgprs: 24
; NumVgprs: 7
; ScratchSize: 0
; MemoryBound: 1
; FloatMode: 240
; IeeeMode: 1
; LDSByteSize: 0 bytes/workgroup (compile time only)
; SGPRBlocks: 2
; VGPRBlocks: 1
; NumSGPRsForWavesPerEU: 24
; NumVGPRsForWavesPerEU: 7
; Occupancy: 10
; WaveLimiterHint : 0
; COMPUTE_PGM_RSRC2:SCRATCH_EN: 0
; COMPUTE_PGM_RSRC2:USER_SGPR: 6
; COMPUTE_PGM_RSRC2:TRAP_HANDLER: 0
; COMPUTE_PGM_RSRC2:TGID_X_EN: 1
; COMPUTE_PGM_RSRC2:TGID_Y_EN: 1
; COMPUTE_PGM_RSRC2:TGID_Z_EN: 1
; COMPUTE_PGM_RSRC2:TIDIG_COMP_CNT: 1
	.section	.text._ZL24rocblas_symm_hemm_kernelILb0ELb0ELi32EdPKdPdEvbiiT2_T3_lllS4_lllT4_llli,"axG",@progbits,_ZL24rocblas_symm_hemm_kernelILb0ELb0ELi32EdPKdPdEvbiiT2_T3_lllS4_lllT4_llli,comdat
	.globl	_ZL24rocblas_symm_hemm_kernelILb0ELb0ELi32EdPKdPdEvbiiT2_T3_lllS4_lllT4_llli ; -- Begin function _ZL24rocblas_symm_hemm_kernelILb0ELb0ELi32EdPKdPdEvbiiT2_T3_lllS4_lllT4_llli
	.p2align	8
	.type	_ZL24rocblas_symm_hemm_kernelILb0ELb0ELi32EdPKdPdEvbiiT2_T3_lllS4_lllT4_llli,@function
_ZL24rocblas_symm_hemm_kernelILb0ELb0ELi32EdPKdPdEvbiiT2_T3_lllS4_lllT4_llli: ; @_ZL24rocblas_symm_hemm_kernelILb0ELb0ELi32EdPKdPdEvbiiT2_T3_lllS4_lllT4_llli
; %bb.0:
	s_load_dwordx16 s[12:27], s[4:5], 0x10
	s_waitcnt lgkmcnt(0)
	v_cmp_eq_f64_e64 s[0:1], s[12:13], 0
	s_and_b64 vcc, exec, s[0:1]
	s_cbranch_vccnz .LBB10_13
; %bb.1:
	s_load_dwordx4 s[28:31], s[4:5], 0x0
	s_waitcnt lgkmcnt(0)
	s_add_i32 s0, s30, -1
	s_ashr_i32 s1, s0, 31
	s_lshr_b32 s1, s1, 27
	s_add_i32 s0, s0, s1
	s_ashr_i32 s31, s0, 5
	s_cmp_gt_i32 s7, s31
	s_cbranch_scc1 .LBB10_13
; %bb.2:
	s_mul_i32 s0, s21, s8
	s_mul_hi_u32 s1, s20, s8
	s_add_i32 s1, s1, s0
	s_mul_i32 s0, s20, s8
	s_load_dwordx8 s[36:43], s[4:5], 0x50
	s_load_dwordx2 s[2:3], s[4:5], 0x70
	s_lshl_b64 s[0:1], s[0:1], 3
	s_add_u32 s9, s14, s0
	s_addc_u32 s10, s15, s1
	s_lshl_b64 s[0:1], s[16:17], 3
	s_add_u32 s16, s9, s0
	s_addc_u32 s17, s10, s1
	s_waitcnt lgkmcnt(0)
	s_mul_i32 s0, s37, s8
	s_mul_hi_u32 s1, s36, s8
	s_add_i32 s1, s1, s0
	s_mul_i32 s0, s36, s8
	s_lshl_b64 s[0:1], s[0:1], 3
	s_add_u32 s9, s22, s0
	s_addc_u32 s10, s23, s1
	s_lshl_b64 s[0:1], s[24:25], 3
	s_add_u32 s20, s9, s0
	s_addc_u32 s21, s10, s1
	s_bitcmp1_b32 s28, 0
	s_load_dword s22, s[4:5], 0x84
	s_mul_i32 s3, s3, s8
	s_mul_hi_u32 s4, s2, s8
	s_cselect_b64 s[0:1], -1, 0
	s_add_i32 s3, s4, s3
	s_mul_i32 s2, s2, s8
	s_lshl_b64 s[2:3], s[2:3], 3
	s_add_u32 s4, s38, s2
	s_addc_u32 s5, s39, s3
	s_lshl_b64 s[2:3], s[40:41], 3
	v_lshl_add_u32 v2, s6, 5, v0
	v_lshlrev_b32_e32 v10, 8, v0
	v_lshlrev_b32_e32 v3, 3, v1
	s_add_u32 s4, s4, s2
	v_add_u32_e32 v11, v10, v3
	v_or_b32_e32 v12, 0x2000, v3
	v_ashrrev_i32_e32 v3, 31, v2
	s_addc_u32 s5, s5, s3
	v_lshlrev_b64 v[3:4], 3, v[2:3]
	s_cmp_gt_i32 s29, 0
	v_mov_b32_e32 v5, s5
	v_add_co_u32_e32 v14, vcc, s4, v3
	s_cselect_b64 s[4:5], -1, 0
	v_cndmask_b32_e64 v3, 0, 1, s[4:5]
	v_add_u32_e32 v13, v12, v10
	v_cmp_gt_i32_e64 s[2:3], s29, v2
	v_addc_co_u32_e32 v15, vcc, v5, v4, vcc
	v_cmp_ne_u32_e64 s[4:5], 1, v3
	v_add_u32_e32 v16, 0x800, v12
	v_add_u32_e32 v17, 0x1000, v12
	;; [unrolled: 1-line block ×3, first 2 shown]
	s_branch .LBB10_4
.LBB10_3:                               ;   in Loop: Header=BB10_4 Depth=1
	s_waitcnt lgkmcnt(0)
	s_add_i32 s7, s7, s22
	s_cmp_gt_i32 s7, s31
	s_cbranch_scc1 .LBB10_13
.LBB10_4:                               ; =>This Loop Header: Depth=1
                                        ;     Child Loop BB10_7 Depth 2
	s_and_b64 vcc, exec, s[4:5]
	s_cbranch_vccnz .LBB10_3
; %bb.5:                                ;   in Loop: Header=BB10_4 Depth=1
	v_lshl_add_u32 v5, s7, 5, v1
	v_ashrrev_i32_e32 v6, 31, v5
	v_mul_lo_u32 v7, s26, v6
	v_mul_lo_u32 v8, s27, v5
	v_mad_u64_u32 v[3:4], s[8:9], s26, v5, 0
	v_cmp_gt_i32_e32 vcc, s30, v5
	v_mul_lo_u32 v9, s43, v5
	v_add3_u32 v4, v4, v7, v8
	v_mul_lo_u32 v8, s42, v6
	v_mad_u64_u32 v[5:6], s[8:9], s42, v5, 0
	v_lshlrev_b64 v[3:4], 3, v[3:4]
	v_mov_b32_e32 v7, s21
	v_add_co_u32_e64 v19, s[8:9], s20, v3
	v_add3_u32 v6, v6, v8, v9
	v_addc_co_u32_e64 v20, s[8:9], v7, v4, s[8:9]
	v_lshlrev_b64 v[3:4], 3, v[5:6]
	s_and_b64 s[10:11], s[2:3], vcc
	v_add_co_u32_e64 v3, s[8:9], v14, v3
	v_addc_co_u32_e64 v4, s[8:9], v15, v4, s[8:9]
	s_mov_b32 s6, 0
	s_branch .LBB10_7
.LBB10_6:                               ;   in Loop: Header=BB10_7 Depth=2
	s_or_b64 exec, exec, s[8:9]
	s_add_i32 s6, s6, 32
	s_cmp_ge_i32 s6, s29
	s_waitcnt vmcnt(0)
	s_barrier
	s_cbranch_scc1 .LBB10_3
.LBB10_7:                               ;   Parent Loop BB10_4 Depth=1
                                        ; =>  This Inner Loop Header: Depth=2
	v_add_u32_e32 v5, s6, v1
	v_cndmask_b32_e64 v6, v5, v2, s[0:1]
	v_cndmask_b32_e64 v7, v2, v5, s[0:1]
	v_cmp_gt_i32_e64 s[8:9], v6, v7
	v_cndmask_b32_e64 v7, v2, v5, s[8:9]
	v_cndmask_b32_e64 v21, v5, v2, s[8:9]
	v_max_i32_e32 v22, v7, v21
	v_mov_b32_e32 v5, 0
	v_mov_b32_e32 v8, 0
	;; [unrolled: 1-line block ×4, first 2 shown]
	v_cmp_gt_i32_e64 s[8:9], s29, v22
	s_and_saveexec_b64 s[14:15], s[8:9]
	s_cbranch_execz .LBB10_9
; %bb.8:                                ;   in Loop: Header=BB10_7 Depth=2
	v_ashrrev_i32_e32 v8, 31, v21
	v_mul_lo_u32 v9, s19, v21
	v_mad_u64_u32 v[21:22], s[8:9], s18, v21, 0
	v_mul_lo_u32 v8, s18, v8
	v_add3_u32 v22, v22, v8, v9
	v_lshlrev_b64 v[21:22], 3, v[21:22]
	v_ashrrev_i32_e32 v8, 31, v7
	v_mov_b32_e32 v9, s17
	v_add_co_u32_e64 v21, s[8:9], s16, v21
	v_lshlrev_b64 v[7:8], 3, v[7:8]
	v_addc_co_u32_e64 v9, s[8:9], v9, v22, s[8:9]
	v_add_co_u32_e64 v7, s[8:9], v21, v7
	v_addc_co_u32_e64 v8, s[8:9], v9, v8, s[8:9]
	global_load_dwordx2 v[8:9], v[7:8], off
.LBB10_9:                               ;   in Loop: Header=BB10_7 Depth=2
	s_or_b64 exec, exec, s[14:15]
	v_add_u32_e32 v7, s6, v0
	v_cmp_gt_i32_e64 s[8:9], s29, v7
	s_and_b64 s[8:9], s[8:9], vcc
	s_waitcnt vmcnt(0)
	ds_write_b64 v11, v[8:9]
	s_and_saveexec_b64 s[14:15], s[8:9]
	s_cbranch_execz .LBB10_11
; %bb.10:                               ;   in Loop: Header=BB10_7 Depth=2
	v_ashrrev_i32_e32 v8, 31, v7
	v_lshlrev_b64 v[5:6], 3, v[7:8]
	v_add_co_u32_e64 v5, s[8:9], v19, v5
	v_addc_co_u32_e64 v6, s[8:9], v20, v6, s[8:9]
	global_load_dwordx2 v[5:6], v[5:6], off
.LBB10_11:                              ;   in Loop: Header=BB10_7 Depth=2
	s_or_b64 exec, exec, s[14:15]
	s_waitcnt vmcnt(0)
	ds_write_b64 v13, v[5:6]
	s_waitcnt lgkmcnt(0)
	s_barrier
	s_and_saveexec_b64 s[8:9], s[10:11]
	s_cbranch_execz .LBB10_6
; %bb.12:                               ;   in Loop: Header=BB10_7 Depth=2
	ds_read2_b64 v[5:8], v12 offset1:32
	ds_read_b128 v[21:24], v10
	s_waitcnt lgkmcnt(0)
	v_fma_f64 v[5:6], v[21:22], v[5:6], 0
	v_fma_f64 v[25:26], v[23:24], v[7:8], v[5:6]
	ds_read_b128 v[5:8], v10 offset:16
	ds_read2_b64 v[21:24], v12 offset0:64 offset1:96
	s_waitcnt lgkmcnt(0)
	v_fma_f64 v[5:6], v[5:6], v[21:22], v[25:26]
	v_fma_f64 v[25:26], v[7:8], v[23:24], v[5:6]
	ds_read2_b64 v[5:8], v12 offset0:128 offset1:160
	ds_read_b128 v[21:24], v10 offset:32
	s_waitcnt lgkmcnt(0)
	v_fma_f64 v[5:6], v[21:22], v[5:6], v[25:26]
	v_fma_f64 v[25:26], v[23:24], v[7:8], v[5:6]
	ds_read_b128 v[5:8], v10 offset:48
	ds_read2_b64 v[21:24], v12 offset0:192 offset1:224
	s_waitcnt lgkmcnt(0)
	v_fma_f64 v[5:6], v[5:6], v[21:22], v[25:26]
	v_fma_f64 v[25:26], v[7:8], v[23:24], v[5:6]
	ds_read2_b64 v[5:8], v16 offset1:32
	ds_read_b128 v[21:24], v10 offset:64
	s_waitcnt lgkmcnt(0)
	v_fma_f64 v[5:6], v[21:22], v[5:6], v[25:26]
	v_fma_f64 v[25:26], v[23:24], v[7:8], v[5:6]
	ds_read_b128 v[5:8], v10 offset:80
	ds_read2_b64 v[21:24], v16 offset0:64 offset1:96
	s_waitcnt lgkmcnt(0)
	v_fma_f64 v[5:6], v[5:6], v[21:22], v[25:26]
	v_fma_f64 v[25:26], v[7:8], v[23:24], v[5:6]
	ds_read2_b64 v[5:8], v16 offset0:128 offset1:160
	ds_read_b128 v[21:24], v10 offset:96
	s_waitcnt lgkmcnt(0)
	v_fma_f64 v[5:6], v[21:22], v[5:6], v[25:26]
	v_fma_f64 v[25:26], v[23:24], v[7:8], v[5:6]
	ds_read_b128 v[5:8], v10 offset:112
	ds_read2_b64 v[21:24], v16 offset0:192 offset1:224
	s_waitcnt lgkmcnt(0)
	v_fma_f64 v[5:6], v[5:6], v[21:22], v[25:26]
	v_fma_f64 v[25:26], v[7:8], v[23:24], v[5:6]
	ds_read2_b64 v[5:8], v17 offset1:32
	ds_read_b128 v[21:24], v10 offset:128
	s_waitcnt lgkmcnt(0)
	v_fma_f64 v[5:6], v[21:22], v[5:6], v[25:26]
	v_fma_f64 v[25:26], v[23:24], v[7:8], v[5:6]
	ds_read_b128 v[5:8], v10 offset:144
	ds_read2_b64 v[21:24], v17 offset0:64 offset1:96
	s_waitcnt lgkmcnt(0)
	v_fma_f64 v[5:6], v[5:6], v[21:22], v[25:26]
	v_fma_f64 v[25:26], v[7:8], v[23:24], v[5:6]
	ds_read2_b64 v[5:8], v17 offset0:128 offset1:160
	ds_read_b128 v[21:24], v10 offset:160
	s_waitcnt lgkmcnt(0)
	v_fma_f64 v[5:6], v[21:22], v[5:6], v[25:26]
	v_fma_f64 v[25:26], v[23:24], v[7:8], v[5:6]
	ds_read_b128 v[5:8], v10 offset:176
	ds_read2_b64 v[21:24], v17 offset0:192 offset1:224
	s_waitcnt lgkmcnt(0)
	v_fma_f64 v[5:6], v[5:6], v[21:22], v[25:26]
	global_load_dwordx2 v[25:26], v[3:4], off
	v_fma_f64 v[27:28], v[7:8], v[23:24], v[5:6]
	ds_read2_b64 v[5:8], v18 offset1:32
	ds_read_b128 v[21:24], v10 offset:192
	s_waitcnt lgkmcnt(0)
	v_fma_f64 v[5:6], v[21:22], v[5:6], v[27:28]
	v_fma_f64 v[27:28], v[23:24], v[7:8], v[5:6]
	ds_read_b128 v[5:8], v10 offset:208
	ds_read2_b64 v[21:24], v18 offset0:64 offset1:96
	s_waitcnt lgkmcnt(0)
	v_fma_f64 v[5:6], v[5:6], v[21:22], v[27:28]
	v_fma_f64 v[27:28], v[7:8], v[23:24], v[5:6]
	ds_read2_b64 v[5:8], v18 offset0:128 offset1:160
	ds_read_b128 v[21:24], v10 offset:224
	s_waitcnt lgkmcnt(0)
	v_fma_f64 v[5:6], v[21:22], v[5:6], v[27:28]
	v_fma_f64 v[27:28], v[23:24], v[7:8], v[5:6]
	ds_read_b128 v[5:8], v10 offset:240
	ds_read2_b64 v[21:24], v18 offset0:192 offset1:224
	s_waitcnt lgkmcnt(0)
	v_fma_f64 v[5:6], v[5:6], v[21:22], v[27:28]
	v_fma_f64 v[5:6], v[7:8], v[23:24], v[5:6]
	s_waitcnt vmcnt(0)
	v_fma_f64 v[5:6], s[12:13], v[5:6], v[25:26]
	global_store_dwordx2 v[3:4], v[5:6], off
	s_branch .LBB10_6
.LBB10_13:
	s_endpgm
	.section	.rodata,"a",@progbits
	.p2align	6, 0x0
	.amdhsa_kernel _ZL24rocblas_symm_hemm_kernelILb0ELb0ELi32EdPKdPdEvbiiT2_T3_lllS4_lllT4_llli
		.amdhsa_group_segment_fixed_size 16384
		.amdhsa_private_segment_fixed_size 0
		.amdhsa_kernarg_size 384
		.amdhsa_user_sgpr_count 6
		.amdhsa_user_sgpr_private_segment_buffer 1
		.amdhsa_user_sgpr_dispatch_ptr 0
		.amdhsa_user_sgpr_queue_ptr 0
		.amdhsa_user_sgpr_kernarg_segment_ptr 1
		.amdhsa_user_sgpr_dispatch_id 0
		.amdhsa_user_sgpr_flat_scratch_init 0
		.amdhsa_user_sgpr_private_segment_size 0
		.amdhsa_uses_dynamic_stack 0
		.amdhsa_system_sgpr_private_segment_wavefront_offset 0
		.amdhsa_system_sgpr_workgroup_id_x 1
		.amdhsa_system_sgpr_workgroup_id_y 1
		.amdhsa_system_sgpr_workgroup_id_z 1
		.amdhsa_system_sgpr_workgroup_info 0
		.amdhsa_system_vgpr_workitem_id 1
		.amdhsa_next_free_vgpr 29
		.amdhsa_next_free_sgpr 61
		.amdhsa_reserve_vcc 1
		.amdhsa_reserve_flat_scratch 0
		.amdhsa_float_round_mode_32 0
		.amdhsa_float_round_mode_16_64 0
		.amdhsa_float_denorm_mode_32 3
		.amdhsa_float_denorm_mode_16_64 3
		.amdhsa_dx10_clamp 1
		.amdhsa_ieee_mode 1
		.amdhsa_fp16_overflow 0
		.amdhsa_exception_fp_ieee_invalid_op 0
		.amdhsa_exception_fp_denorm_src 0
		.amdhsa_exception_fp_ieee_div_zero 0
		.amdhsa_exception_fp_ieee_overflow 0
		.amdhsa_exception_fp_ieee_underflow 0
		.amdhsa_exception_fp_ieee_inexact 0
		.amdhsa_exception_int_div_zero 0
	.end_amdhsa_kernel
	.section	.text._ZL24rocblas_symm_hemm_kernelILb0ELb0ELi32EdPKdPdEvbiiT2_T3_lllS4_lllT4_llli,"axG",@progbits,_ZL24rocblas_symm_hemm_kernelILb0ELb0ELi32EdPKdPdEvbiiT2_T3_lllS4_lllT4_llli,comdat
.Lfunc_end10:
	.size	_ZL24rocblas_symm_hemm_kernelILb0ELb0ELi32EdPKdPdEvbiiT2_T3_lllS4_lllT4_llli, .Lfunc_end10-_ZL24rocblas_symm_hemm_kernelILb0ELb0ELi32EdPKdPdEvbiiT2_T3_lllS4_lllT4_llli
                                        ; -- End function
	.set _ZL24rocblas_symm_hemm_kernelILb0ELb0ELi32EdPKdPdEvbiiT2_T3_lllS4_lllT4_llli.num_vgpr, 29
	.set _ZL24rocblas_symm_hemm_kernelILb0ELb0ELi32EdPKdPdEvbiiT2_T3_lllS4_lllT4_llli.num_agpr, 0
	.set _ZL24rocblas_symm_hemm_kernelILb0ELb0ELi32EdPKdPdEvbiiT2_T3_lllS4_lllT4_llli.numbered_sgpr, 44
	.set _ZL24rocblas_symm_hemm_kernelILb0ELb0ELi32EdPKdPdEvbiiT2_T3_lllS4_lllT4_llli.num_named_barrier, 0
	.set _ZL24rocblas_symm_hemm_kernelILb0ELb0ELi32EdPKdPdEvbiiT2_T3_lllS4_lllT4_llli.private_seg_size, 0
	.set _ZL24rocblas_symm_hemm_kernelILb0ELb0ELi32EdPKdPdEvbiiT2_T3_lllS4_lllT4_llli.uses_vcc, 1
	.set _ZL24rocblas_symm_hemm_kernelILb0ELb0ELi32EdPKdPdEvbiiT2_T3_lllS4_lllT4_llli.uses_flat_scratch, 0
	.set _ZL24rocblas_symm_hemm_kernelILb0ELb0ELi32EdPKdPdEvbiiT2_T3_lllS4_lllT4_llli.has_dyn_sized_stack, 0
	.set _ZL24rocblas_symm_hemm_kernelILb0ELb0ELi32EdPKdPdEvbiiT2_T3_lllS4_lllT4_llli.has_recursion, 0
	.set _ZL24rocblas_symm_hemm_kernelILb0ELb0ELi32EdPKdPdEvbiiT2_T3_lllS4_lllT4_llli.has_indirect_call, 0
	.section	.AMDGPU.csdata,"",@progbits
; Kernel info:
; codeLenInByte = 1432
; TotalNumSgprs: 48
; NumVgprs: 29
; ScratchSize: 0
; MemoryBound: 0
; FloatMode: 240
; IeeeMode: 1
; LDSByteSize: 16384 bytes/workgroup (compile time only)
; SGPRBlocks: 8
; VGPRBlocks: 7
; NumSGPRsForWavesPerEU: 65
; NumVGPRsForWavesPerEU: 29
; Occupancy: 8
; WaveLimiterHint : 0
; COMPUTE_PGM_RSRC2:SCRATCH_EN: 0
; COMPUTE_PGM_RSRC2:USER_SGPR: 6
; COMPUTE_PGM_RSRC2:TRAP_HANDLER: 0
; COMPUTE_PGM_RSRC2:TGID_X_EN: 1
; COMPUTE_PGM_RSRC2:TGID_Y_EN: 1
; COMPUTE_PGM_RSRC2:TGID_Z_EN: 1
; COMPUTE_PGM_RSRC2:TIDIG_COMP_CNT: 1
	.section	.text._ZL24rocblas_symm_hemm_kernelILb0ELb1ELi32EdPKdPdEvbiiT2_T3_lllS4_lllT4_llli,"axG",@progbits,_ZL24rocblas_symm_hemm_kernelILb0ELb1ELi32EdPKdPdEvbiiT2_T3_lllS4_lllT4_llli,comdat
	.globl	_ZL24rocblas_symm_hemm_kernelILb0ELb1ELi32EdPKdPdEvbiiT2_T3_lllS4_lllT4_llli ; -- Begin function _ZL24rocblas_symm_hemm_kernelILb0ELb1ELi32EdPKdPdEvbiiT2_T3_lllS4_lllT4_llli
	.p2align	8
	.type	_ZL24rocblas_symm_hemm_kernelILb0ELb1ELi32EdPKdPdEvbiiT2_T3_lllS4_lllT4_llli,@function
_ZL24rocblas_symm_hemm_kernelILb0ELb1ELi32EdPKdPdEvbiiT2_T3_lllS4_lllT4_llli: ; @_ZL24rocblas_symm_hemm_kernelILb0ELb1ELi32EdPKdPdEvbiiT2_T3_lllS4_lllT4_llli
; %bb.0:
	s_load_dwordx16 s[12:27], s[4:5], 0x10
	s_waitcnt lgkmcnt(0)
	v_cmp_eq_f64_e64 s[0:1], s[12:13], 0
	s_and_b64 vcc, exec, s[0:1]
	s_cbranch_vccnz .LBB11_13
; %bb.1:
	s_load_dwordx4 s[28:31], s[4:5], 0x0
	s_waitcnt lgkmcnt(0)
	s_add_i32 s0, s30, -1
	s_ashr_i32 s1, s0, 31
	s_lshr_b32 s1, s1, 27
	s_add_i32 s0, s0, s1
	s_ashr_i32 s31, s0, 5
	s_cmp_gt_i32 s7, s31
	s_cbranch_scc1 .LBB11_13
; %bb.2:
	s_mul_i32 s0, s21, s8
	s_mul_hi_u32 s1, s20, s8
	s_add_i32 s1, s1, s0
	s_mul_i32 s0, s20, s8
	s_lshl_b64 s[0:1], s[0:1], 3
	s_add_u32 s2, s14, s0
	s_addc_u32 s3, s15, s1
	s_lshl_b64 s[0:1], s[16:17], 3
	s_add_u32 s14, s2, s0
	s_addc_u32 s15, s3, s1
	s_load_dwordx2 s[2:3], s[4:5], 0x70
	s_load_dwordx8 s[36:43], s[4:5], 0x50
	s_load_dword s16, s[4:5], 0x84
	s_bitcmp1_b32 s28, 0
	s_cselect_b64 s[0:1], -1, 0
	v_lshl_add_u32 v2, s6, 5, v0
	s_waitcnt lgkmcnt(0)
	s_mul_i32 s3, s3, s8
	s_mul_hi_u32 s4, s2, s8
	s_add_i32 s3, s4, s3
	s_mul_i32 s2, s2, s8
	s_lshl_b64 s[2:3], s[2:3], 3
	s_add_u32 s4, s38, s2
	s_addc_u32 s5, s39, s3
	s_lshl_b64 s[2:3], s[40:41], 3
	s_add_u32 s4, s4, s2
	s_addc_u32 s5, s5, s3
	s_mul_i32 s2, s37, s8
	s_mul_hi_u32 s3, s36, s8
	s_add_i32 s3, s3, s2
	s_mul_i32 s2, s36, s8
	s_lshl_b64 s[2:3], s[2:3], 3
	s_add_u32 s8, s22, s2
	s_addc_u32 s9, s23, s3
	s_lshl_b64 s[2:3], s[24:25], 3
	s_add_u32 s8, s8, s2
	v_ashrrev_i32_e32 v3, 31, v2
	s_addc_u32 s9, s9, s3
	v_cmp_gt_i32_e64 s[2:3], s29, v2
	v_lshlrev_b64 v[2:3], 3, v[2:3]
	v_mov_b32_e32 v4, s9
	v_add_co_u32_e32 v8, vcc, s8, v2
	s_cmp_gt_i32 s30, 0
	v_addc_co_u32_e32 v9, vcc, v4, v3, vcc
	v_lshlrev_b32_e32 v10, 8, v0
	v_lshlrev_b32_e32 v4, 3, v1
	v_add_u32_e32 v11, v10, v4
	v_or_b32_e32 v12, 0x2000, v4
	v_mov_b32_e32 v4, s5
	v_add_co_u32_e32 v14, vcc, s4, v2
	s_cselect_b64 s[4:5], -1, 0
	v_cndmask_b32_e64 v2, 0, 1, s[4:5]
	v_add_u32_e32 v13, v12, v10
	v_addc_co_u32_e32 v15, vcc, v4, v3, vcc
	v_cmp_ne_u32_e64 s[4:5], 1, v2
	v_add_u32_e32 v16, 0x800, v12
	v_add_u32_e32 v17, 0x1000, v12
	;; [unrolled: 1-line block ×3, first 2 shown]
	s_branch .LBB11_4
.LBB11_3:                               ;   in Loop: Header=BB11_4 Depth=1
	s_add_i32 s7, s7, s16
	s_cmp_gt_i32 s7, s31
	s_cbranch_scc1 .LBB11_13
.LBB11_4:                               ; =>This Loop Header: Depth=1
                                        ;     Child Loop BB11_7 Depth 2
	s_and_b64 vcc, exec, s[4:5]
	s_cbranch_vccnz .LBB11_3
; %bb.5:                                ;   in Loop: Header=BB11_4 Depth=1
	v_lshl_add_u32 v19, s7, 5, v1
	v_ashrrev_i32_e32 v2, 31, v19
	v_mul_lo_u32 v4, s42, v2
	v_mul_lo_u32 v5, s43, v19
	v_mad_u64_u32 v[2:3], s[8:9], s42, v19, 0
	v_cmp_gt_i32_e32 vcc, s30, v19
	s_and_b64 s[8:9], s[2:3], vcc
	v_add3_u32 v3, v3, v4, v5
	v_lshlrev_b64 v[2:3], 3, v[2:3]
	s_mov_b32 s6, 0
	v_add_co_u32_e32 v2, vcc, v14, v2
	v_addc_co_u32_e32 v3, vcc, v15, v3, vcc
	s_branch .LBB11_7
.LBB11_6:                               ;   in Loop: Header=BB11_7 Depth=2
	s_or_b64 exec, exec, s[10:11]
	s_add_i32 s6, s6, 32
	s_cmp_ge_i32 s6, s30
	s_waitcnt vmcnt(0)
	s_barrier
	s_cbranch_scc1 .LBB11_3
.LBB11_7:                               ;   Parent Loop BB11_4 Depth=1
                                        ; =>  This Inner Loop Header: Depth=2
	v_add_u32_e32 v20, s6, v1
	v_cmp_gt_i32_e32 vcc, s30, v20
	v_mov_b32_e32 v4, 0
	v_mov_b32_e32 v6, 0
	;; [unrolled: 1-line block ×4, first 2 shown]
	s_and_b64 s[20:21], s[2:3], vcc
	s_and_saveexec_b64 s[10:11], s[20:21]
	s_cbranch_execz .LBB11_9
; %bb.8:                                ;   in Loop: Header=BB11_7 Depth=2
	v_ashrrev_i32_e32 v21, 31, v20
	v_mul_lo_u32 v22, s27, v20
	v_mad_u64_u32 v[6:7], s[20:21], s26, v20, 0
	v_mul_lo_u32 v20, s26, v21
	v_add3_u32 v7, v7, v20, v22
	v_lshlrev_b64 v[6:7], 3, v[6:7]
	v_add_co_u32_e32 v6, vcc, v8, v6
	v_addc_co_u32_e32 v7, vcc, v9, v7, vcc
	global_load_dwordx2 v[6:7], v[6:7], off
.LBB11_9:                               ;   in Loop: Header=BB11_7 Depth=2
	s_or_b64 exec, exec, s[10:11]
	s_waitcnt vmcnt(0)
	ds_write_b64 v11, v[6:7]
	v_add_u32_e32 v7, s6, v0
	v_cndmask_b32_e64 v6, v19, v7, s[0:1]
	v_cndmask_b32_e64 v20, v7, v19, s[0:1]
	v_cmp_gt_i32_e32 vcc, v6, v20
	v_cndmask_b32_e32 v6, v7, v19, vcc
	v_cndmask_b32_e32 v7, v19, v7, vcc
	v_max_i32_e32 v20, v6, v7
	v_cmp_gt_i32_e32 vcc, s30, v20
	s_and_saveexec_b64 s[10:11], vcc
	s_cbranch_execz .LBB11_11
; %bb.10:                               ;   in Loop: Header=BB11_7 Depth=2
	v_ashrrev_i32_e32 v20, 31, v7
	v_mul_lo_u32 v21, s19, v7
	v_mad_u64_u32 v[4:5], s[20:21], s18, v7, 0
	v_mul_lo_u32 v7, s18, v20
	v_mov_b32_e32 v20, s15
	v_add3_u32 v5, v5, v7, v21
	v_lshlrev_b64 v[4:5], 3, v[4:5]
	v_ashrrev_i32_e32 v7, 31, v6
	v_add_co_u32_e32 v21, vcc, s14, v4
	v_addc_co_u32_e32 v20, vcc, v20, v5, vcc
	v_lshlrev_b64 v[4:5], 3, v[6:7]
	v_add_co_u32_e32 v4, vcc, v21, v4
	v_addc_co_u32_e32 v5, vcc, v20, v5, vcc
	global_load_dwordx2 v[4:5], v[4:5], off
.LBB11_11:                              ;   in Loop: Header=BB11_7 Depth=2
	s_or_b64 exec, exec, s[10:11]
	s_waitcnt vmcnt(0)
	ds_write_b64 v13, v[4:5]
	s_waitcnt lgkmcnt(0)
	s_barrier
	s_and_saveexec_b64 s[10:11], s[8:9]
	s_cbranch_execz .LBB11_6
; %bb.12:                               ;   in Loop: Header=BB11_7 Depth=2
	ds_read2_b64 v[4:7], v12 offset1:32
	ds_read_b128 v[20:23], v10
	s_waitcnt lgkmcnt(0)
	v_fma_f64 v[4:5], v[20:21], v[4:5], 0
	v_fma_f64 v[24:25], v[22:23], v[6:7], v[4:5]
	ds_read_b128 v[4:7], v10 offset:16
	ds_read2_b64 v[20:23], v12 offset0:64 offset1:96
	s_waitcnt lgkmcnt(0)
	v_fma_f64 v[4:5], v[4:5], v[20:21], v[24:25]
	v_fma_f64 v[24:25], v[6:7], v[22:23], v[4:5]
	ds_read2_b64 v[4:7], v12 offset0:128 offset1:160
	ds_read_b128 v[20:23], v10 offset:32
	s_waitcnt lgkmcnt(0)
	v_fma_f64 v[4:5], v[20:21], v[4:5], v[24:25]
	v_fma_f64 v[24:25], v[22:23], v[6:7], v[4:5]
	ds_read_b128 v[4:7], v10 offset:48
	ds_read2_b64 v[20:23], v12 offset0:192 offset1:224
	s_waitcnt lgkmcnt(0)
	v_fma_f64 v[4:5], v[4:5], v[20:21], v[24:25]
	v_fma_f64 v[24:25], v[6:7], v[22:23], v[4:5]
	ds_read2_b64 v[4:7], v16 offset1:32
	ds_read_b128 v[20:23], v10 offset:64
	s_waitcnt lgkmcnt(0)
	v_fma_f64 v[4:5], v[20:21], v[4:5], v[24:25]
	v_fma_f64 v[24:25], v[22:23], v[6:7], v[4:5]
	ds_read_b128 v[4:7], v10 offset:80
	ds_read2_b64 v[20:23], v16 offset0:64 offset1:96
	s_waitcnt lgkmcnt(0)
	v_fma_f64 v[4:5], v[4:5], v[20:21], v[24:25]
	v_fma_f64 v[24:25], v[6:7], v[22:23], v[4:5]
	ds_read2_b64 v[4:7], v16 offset0:128 offset1:160
	ds_read_b128 v[20:23], v10 offset:96
	s_waitcnt lgkmcnt(0)
	v_fma_f64 v[4:5], v[20:21], v[4:5], v[24:25]
	v_fma_f64 v[24:25], v[22:23], v[6:7], v[4:5]
	ds_read_b128 v[4:7], v10 offset:112
	ds_read2_b64 v[20:23], v16 offset0:192 offset1:224
	s_waitcnt lgkmcnt(0)
	v_fma_f64 v[4:5], v[4:5], v[20:21], v[24:25]
	v_fma_f64 v[24:25], v[6:7], v[22:23], v[4:5]
	ds_read2_b64 v[4:7], v17 offset1:32
	ds_read_b128 v[20:23], v10 offset:128
	s_waitcnt lgkmcnt(0)
	v_fma_f64 v[4:5], v[20:21], v[4:5], v[24:25]
	v_fma_f64 v[24:25], v[22:23], v[6:7], v[4:5]
	ds_read_b128 v[4:7], v10 offset:144
	ds_read2_b64 v[20:23], v17 offset0:64 offset1:96
	s_waitcnt lgkmcnt(0)
	v_fma_f64 v[4:5], v[4:5], v[20:21], v[24:25]
	v_fma_f64 v[24:25], v[6:7], v[22:23], v[4:5]
	ds_read2_b64 v[4:7], v17 offset0:128 offset1:160
	ds_read_b128 v[20:23], v10 offset:160
	s_waitcnt lgkmcnt(0)
	v_fma_f64 v[4:5], v[20:21], v[4:5], v[24:25]
	v_fma_f64 v[24:25], v[22:23], v[6:7], v[4:5]
	ds_read_b128 v[4:7], v10 offset:176
	ds_read2_b64 v[20:23], v17 offset0:192 offset1:224
	s_waitcnt lgkmcnt(0)
	v_fma_f64 v[4:5], v[4:5], v[20:21], v[24:25]
	global_load_dwordx2 v[24:25], v[2:3], off
	v_fma_f64 v[26:27], v[6:7], v[22:23], v[4:5]
	ds_read2_b64 v[4:7], v18 offset1:32
	ds_read_b128 v[20:23], v10 offset:192
	s_waitcnt lgkmcnt(0)
	v_fma_f64 v[4:5], v[20:21], v[4:5], v[26:27]
	v_fma_f64 v[26:27], v[22:23], v[6:7], v[4:5]
	ds_read_b128 v[4:7], v10 offset:208
	ds_read2_b64 v[20:23], v18 offset0:64 offset1:96
	s_waitcnt lgkmcnt(0)
	v_fma_f64 v[4:5], v[4:5], v[20:21], v[26:27]
	v_fma_f64 v[26:27], v[6:7], v[22:23], v[4:5]
	ds_read2_b64 v[4:7], v18 offset0:128 offset1:160
	ds_read_b128 v[20:23], v10 offset:224
	s_waitcnt lgkmcnt(0)
	v_fma_f64 v[4:5], v[20:21], v[4:5], v[26:27]
	v_fma_f64 v[26:27], v[22:23], v[6:7], v[4:5]
	ds_read_b128 v[4:7], v10 offset:240
	ds_read2_b64 v[20:23], v18 offset0:192 offset1:224
	s_waitcnt lgkmcnt(0)
	v_fma_f64 v[4:5], v[4:5], v[20:21], v[26:27]
	v_fma_f64 v[4:5], v[6:7], v[22:23], v[4:5]
	s_waitcnt vmcnt(0)
	v_fma_f64 v[4:5], s[12:13], v[4:5], v[24:25]
	global_store_dwordx2 v[2:3], v[4:5], off
	s_branch .LBB11_6
.LBB11_13:
	s_endpgm
	.section	.rodata,"a",@progbits
	.p2align	6, 0x0
	.amdhsa_kernel _ZL24rocblas_symm_hemm_kernelILb0ELb1ELi32EdPKdPdEvbiiT2_T3_lllS4_lllT4_llli
		.amdhsa_group_segment_fixed_size 16384
		.amdhsa_private_segment_fixed_size 0
		.amdhsa_kernarg_size 384
		.amdhsa_user_sgpr_count 6
		.amdhsa_user_sgpr_private_segment_buffer 1
		.amdhsa_user_sgpr_dispatch_ptr 0
		.amdhsa_user_sgpr_queue_ptr 0
		.amdhsa_user_sgpr_kernarg_segment_ptr 1
		.amdhsa_user_sgpr_dispatch_id 0
		.amdhsa_user_sgpr_flat_scratch_init 0
		.amdhsa_user_sgpr_private_segment_size 0
		.amdhsa_uses_dynamic_stack 0
		.amdhsa_system_sgpr_private_segment_wavefront_offset 0
		.amdhsa_system_sgpr_workgroup_id_x 1
		.amdhsa_system_sgpr_workgroup_id_y 1
		.amdhsa_system_sgpr_workgroup_id_z 1
		.amdhsa_system_sgpr_workgroup_info 0
		.amdhsa_system_vgpr_workitem_id 1
		.amdhsa_next_free_vgpr 29
		.amdhsa_next_free_sgpr 61
		.amdhsa_reserve_vcc 1
		.amdhsa_reserve_flat_scratch 0
		.amdhsa_float_round_mode_32 0
		.amdhsa_float_round_mode_16_64 0
		.amdhsa_float_denorm_mode_32 3
		.amdhsa_float_denorm_mode_16_64 3
		.amdhsa_dx10_clamp 1
		.amdhsa_ieee_mode 1
		.amdhsa_fp16_overflow 0
		.amdhsa_exception_fp_ieee_invalid_op 0
		.amdhsa_exception_fp_denorm_src 0
		.amdhsa_exception_fp_ieee_div_zero 0
		.amdhsa_exception_fp_ieee_overflow 0
		.amdhsa_exception_fp_ieee_underflow 0
		.amdhsa_exception_fp_ieee_inexact 0
		.amdhsa_exception_int_div_zero 0
	.end_amdhsa_kernel
	.section	.text._ZL24rocblas_symm_hemm_kernelILb0ELb1ELi32EdPKdPdEvbiiT2_T3_lllS4_lllT4_llli,"axG",@progbits,_ZL24rocblas_symm_hemm_kernelILb0ELb1ELi32EdPKdPdEvbiiT2_T3_lllS4_lllT4_llli,comdat
.Lfunc_end11:
	.size	_ZL24rocblas_symm_hemm_kernelILb0ELb1ELi32EdPKdPdEvbiiT2_T3_lllS4_lllT4_llli, .Lfunc_end11-_ZL24rocblas_symm_hemm_kernelILb0ELb1ELi32EdPKdPdEvbiiT2_T3_lllS4_lllT4_llli
                                        ; -- End function
	.set _ZL24rocblas_symm_hemm_kernelILb0ELb1ELi32EdPKdPdEvbiiT2_T3_lllS4_lllT4_llli.num_vgpr, 28
	.set _ZL24rocblas_symm_hemm_kernelILb0ELb1ELi32EdPKdPdEvbiiT2_T3_lllS4_lllT4_llli.num_agpr, 0
	.set _ZL24rocblas_symm_hemm_kernelILb0ELb1ELi32EdPKdPdEvbiiT2_T3_lllS4_lllT4_llli.numbered_sgpr, 44
	.set _ZL24rocblas_symm_hemm_kernelILb0ELb1ELi32EdPKdPdEvbiiT2_T3_lllS4_lllT4_llli.num_named_barrier, 0
	.set _ZL24rocblas_symm_hemm_kernelILb0ELb1ELi32EdPKdPdEvbiiT2_T3_lllS4_lllT4_llli.private_seg_size, 0
	.set _ZL24rocblas_symm_hemm_kernelILb0ELb1ELi32EdPKdPdEvbiiT2_T3_lllS4_lllT4_llli.uses_vcc, 1
	.set _ZL24rocblas_symm_hemm_kernelILb0ELb1ELi32EdPKdPdEvbiiT2_T3_lllS4_lllT4_llli.uses_flat_scratch, 0
	.set _ZL24rocblas_symm_hemm_kernelILb0ELb1ELi32EdPKdPdEvbiiT2_T3_lllS4_lllT4_llli.has_dyn_sized_stack, 0
	.set _ZL24rocblas_symm_hemm_kernelILb0ELb1ELi32EdPKdPdEvbiiT2_T3_lllS4_lllT4_llli.has_recursion, 0
	.set _ZL24rocblas_symm_hemm_kernelILb0ELb1ELi32EdPKdPdEvbiiT2_T3_lllS4_lllT4_llli.has_indirect_call, 0
	.section	.AMDGPU.csdata,"",@progbits
; Kernel info:
; codeLenInByte = 1360
; TotalNumSgprs: 48
; NumVgprs: 28
; ScratchSize: 0
; MemoryBound: 0
; FloatMode: 240
; IeeeMode: 1
; LDSByteSize: 16384 bytes/workgroup (compile time only)
; SGPRBlocks: 8
; VGPRBlocks: 7
; NumSGPRsForWavesPerEU: 65
; NumVGPRsForWavesPerEU: 29
; Occupancy: 8
; WaveLimiterHint : 0
; COMPUTE_PGM_RSRC2:SCRATCH_EN: 0
; COMPUTE_PGM_RSRC2:USER_SGPR: 6
; COMPUTE_PGM_RSRC2:TRAP_HANDLER: 0
; COMPUTE_PGM_RSRC2:TGID_X_EN: 1
; COMPUTE_PGM_RSRC2:TGID_Y_EN: 1
; COMPUTE_PGM_RSRC2:TGID_Z_EN: 1
; COMPUTE_PGM_RSRC2:TIDIG_COMP_CNT: 1
	.section	.text._ZL25rocblas_symm_scale_kernelILi128ELi8EPK19rocblas_complex_numIfEPS1_EviiT1_T2_llli,"axG",@progbits,_ZL25rocblas_symm_scale_kernelILi128ELi8EPK19rocblas_complex_numIfEPS1_EviiT1_T2_llli,comdat
	.globl	_ZL25rocblas_symm_scale_kernelILi128ELi8EPK19rocblas_complex_numIfEPS1_EviiT1_T2_llli ; -- Begin function _ZL25rocblas_symm_scale_kernelILi128ELi8EPK19rocblas_complex_numIfEPS1_EviiT1_T2_llli
	.p2align	8
	.type	_ZL25rocblas_symm_scale_kernelILi128ELi8EPK19rocblas_complex_numIfEPS1_EviiT1_T2_llli,@function
_ZL25rocblas_symm_scale_kernelILi128ELi8EPK19rocblas_complex_numIfEPS1_EviiT1_T2_llli: ; @_ZL25rocblas_symm_scale_kernelILi128ELi8EPK19rocblas_complex_numIfEPS1_EviiT1_T2_llli
; %bb.0:
	s_load_dwordx8 s[12:19], s[4:5], 0x8
	s_waitcnt lgkmcnt(0)
	s_load_dwordx2 s[2:3], s[12:13], 0x0
	s_waitcnt lgkmcnt(0)
	v_cmp_eq_f32_e64 s[0:1], s2, 1.0
	v_cmp_eq_f32_e64 s[10:11], s3, 0
	s_and_b64 s[0:1], s[0:1], s[10:11]
	s_and_b64 vcc, exec, s[0:1]
	s_cbranch_vccnz .LBB12_6
; %bb.1:
	s_load_dwordx2 s[0:1], s[4:5], 0x0
	v_lshl_add_u32 v2, s6, 7, v0
	v_lshl_add_u32 v0, s7, 3, v1
	v_mov_b32_e32 v1, 0
	s_waitcnt lgkmcnt(0)
	s_ashr_i32 s7, s1, 31
	s_mov_b32 s6, s1
	v_cmp_gt_i64_e32 vcc, s[6:7], v[0:1]
	v_cmp_gt_u32_e64 s[0:1], s0, v2
	s_and_b64 s[0:1], s[0:1], vcc
	s_and_saveexec_b64 s[10:11], s[0:1]
	s_cbranch_execz .LBB12_6
; %bb.2:
	s_or_b32 s0, s2, s3
	s_bitset0_b32 s0, 31
	s_cmp_lg_u32 s0, 0
	s_load_dwordx2 s[0:1], s[4:5], 0x28
	s_load_dword s9, s[4:5], 0x3c
	v_mad_u64_u32 v[4:5], s[4:5], s18, v0, 0
	s_cselect_b64 s[12:13], -1, 0
	s_waitcnt lgkmcnt(0)
	s_mul_i32 s1, s1, s8
	v_mad_u64_u32 v[5:6], s[4:5], s19, v0, v[5:6]
	s_lshl_b32 s10, s9, 3
	s_mul_hi_u32 s9, s0, s8
	s_add_i32 s1, s9, s1
	s_mul_i32 s0, s0, s8
	s_lshl_b64 s[0:1], s[0:1], 3
	s_lshl_b64 s[4:5], s[16:17], 3
	v_lshlrev_b64 v[4:5], 3, v[4:5]
	s_add_u32 s0, s4, s0
	v_mov_b32_e32 v3, v1
	s_addc_u32 s1, s5, s1
	v_mov_b32_e32 v6, s1
	v_add_co_u32_e32 v4, vcc, s0, v4
	v_lshlrev_b64 v[2:3], 3, v[2:3]
	v_addc_co_u32_e32 v5, vcc, v6, v5, vcc
	v_add_co_u32_e32 v2, vcc, v4, v2
	v_addc_co_u32_e32 v3, vcc, v5, v3, vcc
	v_mov_b32_e32 v4, s15
	v_add_co_u32_e32 v2, vcc, s14, v2
	s_mul_i32 s0, s19, s10
	s_mul_hi_u32 s1, s18, s10
	v_addc_co_u32_e32 v3, vcc, v4, v3, vcc
	s_add_i32 s1, s1, s0
	s_mul_i32 s0, s18, s10
	v_add_co_u32_e32 v2, vcc, 4, v2
	s_lshl_b64 s[4:5], s[0:1], 3
	v_cndmask_b32_e64 v4, 0, 1, s[12:13]
	v_addc_co_u32_e32 v3, vcc, 0, v3, vcc
	s_mov_b64 s[8:9], 0
	v_cmp_ne_u32_e64 s[0:1], 1, v4
	v_mov_b32_e32 v6, s5
	s_branch .LBB12_4
.LBB12_3:                               ;   in Loop: Header=BB12_4 Depth=1
	v_add_co_u32_e32 v0, vcc, s10, v0
	v_addc_co_u32_e32 v1, vcc, 0, v1, vcc
	v_cmp_le_i64_e32 vcc, s[6:7], v[0:1]
	global_store_dwordx2 v[2:3], v[4:5], off offset:-4
	s_or_b64 s[8:9], vcc, s[8:9]
	v_add_co_u32_e32 v2, vcc, s4, v2
	v_addc_co_u32_e32 v3, vcc, v3, v6, vcc
	s_andn2_b64 exec, exec, s[8:9]
	s_cbranch_execz .LBB12_6
.LBB12_4:                               ; =>This Inner Loop Header: Depth=1
	v_mov_b32_e32 v5, 0
	s_and_b64 vcc, exec, s[0:1]
	v_mov_b32_e32 v4, 0
	s_cbranch_vccnz .LBB12_3
; %bb.5:                                ;   in Loop: Header=BB12_4 Depth=1
	global_load_dwordx2 v[7:8], v[2:3], off offset:-4
	s_waitcnt vmcnt(0)
	v_mul_f32_e32 v4, s3, v8
	v_mul_f32_e32 v5, s2, v8
	v_fma_f32 v4, v7, s2, -v4
	v_fmac_f32_e32 v5, s3, v7
	s_branch .LBB12_3
.LBB12_6:
	s_endpgm
	.section	.rodata,"a",@progbits
	.p2align	6, 0x0
	.amdhsa_kernel _ZL25rocblas_symm_scale_kernelILi128ELi8EPK19rocblas_complex_numIfEPS1_EviiT1_T2_llli
		.amdhsa_group_segment_fixed_size 0
		.amdhsa_private_segment_fixed_size 0
		.amdhsa_kernarg_size 312
		.amdhsa_user_sgpr_count 6
		.amdhsa_user_sgpr_private_segment_buffer 1
		.amdhsa_user_sgpr_dispatch_ptr 0
		.amdhsa_user_sgpr_queue_ptr 0
		.amdhsa_user_sgpr_kernarg_segment_ptr 1
		.amdhsa_user_sgpr_dispatch_id 0
		.amdhsa_user_sgpr_flat_scratch_init 0
		.amdhsa_user_sgpr_private_segment_size 0
		.amdhsa_uses_dynamic_stack 0
		.amdhsa_system_sgpr_private_segment_wavefront_offset 0
		.amdhsa_system_sgpr_workgroup_id_x 1
		.amdhsa_system_sgpr_workgroup_id_y 1
		.amdhsa_system_sgpr_workgroup_id_z 1
		.amdhsa_system_sgpr_workgroup_info 0
		.amdhsa_system_vgpr_workitem_id 1
		.amdhsa_next_free_vgpr 9
		.amdhsa_next_free_sgpr 20
		.amdhsa_reserve_vcc 1
		.amdhsa_reserve_flat_scratch 0
		.amdhsa_float_round_mode_32 0
		.amdhsa_float_round_mode_16_64 0
		.amdhsa_float_denorm_mode_32 3
		.amdhsa_float_denorm_mode_16_64 3
		.amdhsa_dx10_clamp 1
		.amdhsa_ieee_mode 1
		.amdhsa_fp16_overflow 0
		.amdhsa_exception_fp_ieee_invalid_op 0
		.amdhsa_exception_fp_denorm_src 0
		.amdhsa_exception_fp_ieee_div_zero 0
		.amdhsa_exception_fp_ieee_overflow 0
		.amdhsa_exception_fp_ieee_underflow 0
		.amdhsa_exception_fp_ieee_inexact 0
		.amdhsa_exception_int_div_zero 0
	.end_amdhsa_kernel
	.section	.text._ZL25rocblas_symm_scale_kernelILi128ELi8EPK19rocblas_complex_numIfEPS1_EviiT1_T2_llli,"axG",@progbits,_ZL25rocblas_symm_scale_kernelILi128ELi8EPK19rocblas_complex_numIfEPS1_EviiT1_T2_llli,comdat
.Lfunc_end12:
	.size	_ZL25rocblas_symm_scale_kernelILi128ELi8EPK19rocblas_complex_numIfEPS1_EviiT1_T2_llli, .Lfunc_end12-_ZL25rocblas_symm_scale_kernelILi128ELi8EPK19rocblas_complex_numIfEPS1_EviiT1_T2_llli
                                        ; -- End function
	.set _ZL25rocblas_symm_scale_kernelILi128ELi8EPK19rocblas_complex_numIfEPS1_EviiT1_T2_llli.num_vgpr, 9
	.set _ZL25rocblas_symm_scale_kernelILi128ELi8EPK19rocblas_complex_numIfEPS1_EviiT1_T2_llli.num_agpr, 0
	.set _ZL25rocblas_symm_scale_kernelILi128ELi8EPK19rocblas_complex_numIfEPS1_EviiT1_T2_llli.numbered_sgpr, 20
	.set _ZL25rocblas_symm_scale_kernelILi128ELi8EPK19rocblas_complex_numIfEPS1_EviiT1_T2_llli.num_named_barrier, 0
	.set _ZL25rocblas_symm_scale_kernelILi128ELi8EPK19rocblas_complex_numIfEPS1_EviiT1_T2_llli.private_seg_size, 0
	.set _ZL25rocblas_symm_scale_kernelILi128ELi8EPK19rocblas_complex_numIfEPS1_EviiT1_T2_llli.uses_vcc, 1
	.set _ZL25rocblas_symm_scale_kernelILi128ELi8EPK19rocblas_complex_numIfEPS1_EviiT1_T2_llli.uses_flat_scratch, 0
	.set _ZL25rocblas_symm_scale_kernelILi128ELi8EPK19rocblas_complex_numIfEPS1_EviiT1_T2_llli.has_dyn_sized_stack, 0
	.set _ZL25rocblas_symm_scale_kernelILi128ELi8EPK19rocblas_complex_numIfEPS1_EviiT1_T2_llli.has_recursion, 0
	.set _ZL25rocblas_symm_scale_kernelILi128ELi8EPK19rocblas_complex_numIfEPS1_EviiT1_T2_llli.has_indirect_call, 0
	.section	.AMDGPU.csdata,"",@progbits
; Kernel info:
; codeLenInByte = 408
; TotalNumSgprs: 24
; NumVgprs: 9
; ScratchSize: 0
; MemoryBound: 0
; FloatMode: 240
; IeeeMode: 1
; LDSByteSize: 0 bytes/workgroup (compile time only)
; SGPRBlocks: 2
; VGPRBlocks: 2
; NumSGPRsForWavesPerEU: 24
; NumVGPRsForWavesPerEU: 9
; Occupancy: 10
; WaveLimiterHint : 0
; COMPUTE_PGM_RSRC2:SCRATCH_EN: 0
; COMPUTE_PGM_RSRC2:USER_SGPR: 6
; COMPUTE_PGM_RSRC2:TRAP_HANDLER: 0
; COMPUTE_PGM_RSRC2:TGID_X_EN: 1
; COMPUTE_PGM_RSRC2:TGID_Y_EN: 1
; COMPUTE_PGM_RSRC2:TGID_Z_EN: 1
; COMPUTE_PGM_RSRC2:TIDIG_COMP_CNT: 1
	.section	.text._ZL24rocblas_symm_hemm_kernelILb0ELb0ELi32EPK19rocblas_complex_numIfES3_PS1_EvbiiT2_T3_lllS6_lllT4_llli,"axG",@progbits,_ZL24rocblas_symm_hemm_kernelILb0ELb0ELi32EPK19rocblas_complex_numIfES3_PS1_EvbiiT2_T3_lllS6_lllT4_llli,comdat
	.globl	_ZL24rocblas_symm_hemm_kernelILb0ELb0ELi32EPK19rocblas_complex_numIfES3_PS1_EvbiiT2_T3_lllS6_lllT4_llli ; -- Begin function _ZL24rocblas_symm_hemm_kernelILb0ELb0ELi32EPK19rocblas_complex_numIfES3_PS1_EvbiiT2_T3_lllS6_lllT4_llli
	.p2align	8
	.type	_ZL24rocblas_symm_hemm_kernelILb0ELb0ELi32EPK19rocblas_complex_numIfES3_PS1_EvbiiT2_T3_lllS6_lllT4_llli,@function
_ZL24rocblas_symm_hemm_kernelILb0ELb0ELi32EPK19rocblas_complex_numIfES3_PS1_EvbiiT2_T3_lllS6_lllT4_llli: ; @_ZL24rocblas_symm_hemm_kernelILb0ELb0ELi32EPK19rocblas_complex_numIfES3_PS1_EvbiiT2_T3_lllS6_lllT4_llli
; %bb.0:
	s_load_dwordx16 s[12:27], s[4:5], 0x10
	s_waitcnt lgkmcnt(0)
	s_load_dwordx2 s[10:11], s[12:13], 0x0
	s_waitcnt lgkmcnt(0)
	v_cmp_eq_f32_e64 s[0:1], s10, 0
	v_cmp_eq_f32_e64 s[2:3], s11, 0
	s_and_b64 s[0:1], s[0:1], s[2:3]
	s_and_b64 vcc, exec, s[0:1]
	s_cbranch_vccnz .LBB13_13
; %bb.1:
	s_load_dwordx4 s[28:31], s[4:5], 0x0
	s_waitcnt lgkmcnt(0)
	s_add_i32 s0, s30, -1
	s_ashr_i32 s1, s0, 31
	s_lshr_b32 s1, s1, 27
	s_add_i32 s0, s0, s1
	s_ashr_i32 s31, s0, 5
	s_cmp_gt_i32 s7, s31
	s_cbranch_scc1 .LBB13_13
; %bb.2:
	s_mul_i32 s0, s21, s8
	s_mul_hi_u32 s1, s20, s8
	s_add_i32 s1, s1, s0
	s_mul_i32 s0, s20, s8
	s_load_dwordx8 s[36:43], s[4:5], 0x50
	s_load_dwordx2 s[2:3], s[4:5], 0x70
	s_lshl_b64 s[0:1], s[0:1], 3
	s_add_u32 s9, s14, s0
	s_addc_u32 s12, s15, s1
	s_lshl_b64 s[0:1], s[16:17], 3
	s_add_u32 s16, s9, s0
	s_addc_u32 s17, s12, s1
	s_waitcnt lgkmcnt(0)
	s_mul_i32 s0, s37, s8
	s_mul_hi_u32 s1, s36, s8
	s_add_i32 s1, s1, s0
	s_mul_i32 s0, s36, s8
	s_lshl_b64 s[0:1], s[0:1], 3
	s_add_u32 s9, s22, s0
	s_addc_u32 s12, s23, s1
	s_lshl_b64 s[0:1], s[24:25], 3
	s_add_u32 s20, s9, s0
	s_addc_u32 s21, s12, s1
	s_bitcmp1_b32 s28, 0
	s_load_dword s22, s[4:5], 0x84
	s_mul_i32 s3, s3, s8
	s_mul_hi_u32 s4, s2, s8
	s_cselect_b64 s[0:1], -1, 0
	s_add_i32 s3, s4, s3
	s_mul_i32 s2, s2, s8
	s_lshl_b64 s[2:3], s[2:3], 3
	s_add_u32 s4, s38, s2
	s_addc_u32 s5, s39, s3
	s_lshl_b64 s[2:3], s[40:41], 3
	v_lshl_add_u32 v14, s6, 5, v0
	s_add_u32 s4, s4, s2
	v_lshlrev_b32_e32 v17, 8, v0
	v_lshlrev_b32_e32 v2, 3, v1
	v_ashrrev_i32_e32 v15, 31, v14
	s_addc_u32 s5, s5, s3
	v_add_u32_e32 v18, v17, v2
	v_or_b32_e32 v19, 0x2000, v2
	v_lshlrev_b64 v[2:3], 3, v[14:15]
	s_cmp_gt_i32 s29, 0
	v_mov_b32_e32 v4, s5
	v_add_co_u32_e32 v21, vcc, s4, v2
	s_cselect_b64 s[4:5], -1, 0
	v_cndmask_b32_e64 v2, 0, 1, s[4:5]
	v_add_u32_e32 v20, v19, v17
	v_cmp_gt_i32_e64 s[2:3], s29, v14
	v_addc_co_u32_e32 v22, vcc, v4, v3, vcc
	v_cmp_ne_u32_e64 s[4:5], 1, v2
	v_add_u32_e32 v23, 0x800, v19
	v_add_u32_e32 v24, 0x1000, v19
	;; [unrolled: 1-line block ×3, first 2 shown]
	s_branch .LBB13_4
.LBB13_3:                               ;   in Loop: Header=BB13_4 Depth=1
	s_waitcnt lgkmcnt(0)
	s_add_i32 s7, s7, s22
	s_cmp_gt_i32 s7, s31
	s_cbranch_scc1 .LBB13_13
.LBB13_4:                               ; =>This Loop Header: Depth=1
                                        ;     Child Loop BB13_7 Depth 2
	s_and_b64 vcc, exec, s[4:5]
	s_cbranch_vccnz .LBB13_3
; %bb.5:                                ;   in Loop: Header=BB13_4 Depth=1
	v_lshl_add_u32 v4, s7, 5, v1
	v_ashrrev_i32_e32 v5, 31, v4
	v_mul_lo_u32 v6, s26, v5
	v_mul_lo_u32 v7, s27, v4
	v_mad_u64_u32 v[2:3], s[8:9], s26, v4, 0
	v_cmp_gt_i32_e32 vcc, s30, v4
	v_mul_lo_u32 v8, s43, v4
	v_add3_u32 v3, v3, v6, v7
	v_mul_lo_u32 v7, s42, v5
	v_mad_u64_u32 v[4:5], s[8:9], s42, v4, 0
	v_lshlrev_b64 v[2:3], 3, v[2:3]
	v_mov_b32_e32 v6, s21
	v_add_co_u32_e64 v26, s[8:9], s20, v2
	v_add3_u32 v5, v5, v7, v8
	v_addc_co_u32_e64 v27, s[8:9], v6, v3, s[8:9]
	v_lshlrev_b64 v[2:3], 3, v[4:5]
	s_and_b64 s[12:13], s[2:3], vcc
	v_add_co_u32_e64 v15, s[8:9], v21, v2
	v_addc_co_u32_e64 v16, s[8:9], v22, v3, s[8:9]
	s_mov_b32 s6, 0
	s_branch .LBB13_7
.LBB13_6:                               ;   in Loop: Header=BB13_7 Depth=2
	s_or_b64 exec, exec, s[8:9]
	s_add_i32 s6, s6, 32
	s_cmp_ge_i32 s6, s29
	s_waitcnt vmcnt(0)
	s_barrier
	s_cbranch_scc1 .LBB13_3
.LBB13_7:                               ;   Parent Loop BB13_4 Depth=1
                                        ; =>  This Inner Loop Header: Depth=2
	v_add_u32_e32 v2, s6, v1
	v_cndmask_b32_e64 v3, v2, v14, s[0:1]
	v_cndmask_b32_e64 v4, v14, v2, s[0:1]
	v_cmp_gt_i32_e64 s[8:9], v3, v4
	v_cndmask_b32_e64 v3, v14, v2, s[8:9]
	v_cndmask_b32_e64 v6, v2, v14, s[8:9]
	v_max_i32_e32 v2, v3, v6
	v_cmp_gt_i32_e64 s[8:9], s29, v2
	v_mov_b32_e32 v2, 0
	v_mov_b32_e32 v4, 0
	;; [unrolled: 1-line block ×3, first 2 shown]
	s_and_saveexec_b64 s[14:15], s[8:9]
	s_cbranch_execz .LBB13_9
; %bb.8:                                ;   in Loop: Header=BB13_7 Depth=2
	v_ashrrev_i32_e32 v4, 31, v6
	v_mul_lo_u32 v7, s19, v6
	v_mad_u64_u32 v[5:6], s[8:9], s18, v6, 0
	v_mul_lo_u32 v4, s18, v4
	v_add3_u32 v6, v6, v4, v7
	v_lshlrev_b64 v[5:6], 3, v[5:6]
	v_ashrrev_i32_e32 v4, 31, v3
	v_mov_b32_e32 v7, s17
	v_add_co_u32_e64 v5, s[8:9], s16, v5
	v_lshlrev_b64 v[3:4], 3, v[3:4]
	v_addc_co_u32_e64 v6, s[8:9], v7, v6, s[8:9]
	v_add_co_u32_e64 v3, s[8:9], v5, v3
	v_addc_co_u32_e64 v4, s[8:9], v6, v4, s[8:9]
	global_load_dwordx2 v[4:5], v[3:4], off
.LBB13_9:                               ;   in Loop: Header=BB13_7 Depth=2
	s_or_b64 exec, exec, s[14:15]
	s_waitcnt vmcnt(0)
	ds_write_b64 v18, v[4:5]
	v_add_u32_e32 v4, s6, v0
	v_cmp_gt_i32_e64 s[8:9], s29, v4
	s_and_b64 s[8:9], s[8:9], vcc
	v_mov_b32_e32 v3, 0
	s_and_saveexec_b64 s[14:15], s[8:9]
	s_cbranch_execz .LBB13_11
; %bb.10:                               ;   in Loop: Header=BB13_7 Depth=2
	v_ashrrev_i32_e32 v5, 31, v4
	v_lshlrev_b64 v[2:3], 3, v[4:5]
	v_add_co_u32_e64 v2, s[8:9], v26, v2
	v_addc_co_u32_e64 v3, s[8:9], v27, v3, s[8:9]
	global_load_dwordx2 v[2:3], v[2:3], off
.LBB13_11:                              ;   in Loop: Header=BB13_7 Depth=2
	s_or_b64 exec, exec, s[14:15]
	s_waitcnt vmcnt(0)
	ds_write_b64 v20, v[2:3]
	s_waitcnt lgkmcnt(0)
	s_barrier
	s_and_saveexec_b64 s[8:9], s[12:13]
	s_cbranch_execz .LBB13_6
; %bb.12:                               ;   in Loop: Header=BB13_7 Depth=2
	ds_read2_b64 v[2:5], v19 offset1:32
	ds_read_b128 v[6:9], v17
	ds_read_b128 v[10:13], v17 offset:16
	s_waitcnt lgkmcnt(1)
	v_mul_f32_e32 v28, v3, v7
	v_fma_f32 v33, v2, v6, -v28
	ds_read2_b64 v[28:31], v19 offset0:64 offset1:96
	v_mul_f32_e32 v32, v2, v7
	v_mul_f32_e32 v2, v5, v9
	v_fma_f32 v34, v4, v8, -v2
	v_fmac_f32_e32 v32, v3, v6
	s_waitcnt lgkmcnt(0)
	v_mul_f32_e32 v2, v29, v11
	v_mul_f32_e32 v35, v4, v9
	v_fma_f32 v36, v28, v10, -v2
	v_mul_f32_e32 v28, v28, v11
	v_mul_f32_e32 v2, v31, v13
	v_fmac_f32_e32 v35, v5, v8
	v_fmac_f32_e32 v28, v29, v10
	v_fma_f32 v29, v30, v12, -v2
	v_mul_f32_e32 v30, v30, v13
	v_add_f32_e32 v10, 0, v33
	v_add_f32_e32 v11, 0, v32
	v_fmac_f32_e32 v30, v31, v12
	ds_read_b128 v[2:5], v17 offset:32
	ds_read_b128 v[6:9], v17 offset:48
	v_add_f32_e32 v31, v10, v34
	v_add_f32_e32 v32, v11, v35
	ds_read2_b64 v[10:13], v19 offset0:128 offset1:160
	v_add_f32_e32 v28, v32, v28
	v_add_f32_e32 v31, v31, v36
	;; [unrolled: 1-line block ×4, first 2 shown]
	s_waitcnt lgkmcnt(0)
	v_mul_f32_e32 v30, v11, v3
	v_mul_f32_e32 v3, v10, v3
	v_fma_f32 v30, v10, v2, -v30
	v_fmac_f32_e32 v3, v11, v2
	v_add_f32_e32 v2, v29, v30
	v_add_f32_e32 v3, v28, v3
	ds_read2_b64 v[28:31], v19 offset0:192 offset1:224
	v_mul_f32_e32 v10, v13, v5
	v_mul_f32_e32 v5, v12, v5
	v_fma_f32 v10, v12, v4, -v10
	v_fmac_f32_e32 v5, v13, v4
	s_waitcnt lgkmcnt(0)
	v_mul_f32_e32 v4, v29, v7
	v_add_f32_e32 v2, v2, v10
	v_add_f32_e32 v3, v3, v5
	v_fma_f32 v4, v28, v6, -v4
	v_mul_f32_e32 v5, v28, v7
	v_fmac_f32_e32 v5, v29, v6
	v_add_f32_e32 v6, v2, v4
	v_mul_f32_e32 v2, v31, v9
	v_add_f32_e32 v7, v3, v5
	v_fma_f32 v13, v30, v8, -v2
	v_mul_f32_e32 v28, v30, v9
	ds_read_b128 v[2:5], v17 offset:64
	ds_read2_b64 v[9:12], v23 offset1:32
	v_fmac_f32_e32 v28, v31, v8
	v_add_f32_e32 v6, v6, v13
	v_add_f32_e32 v7, v7, v28
	ds_read_b128 v[28:31], v17 offset:80
	s_waitcnt lgkmcnt(1)
	v_mul_f32_e32 v8, v10, v3
	v_fma_f32 v8, v9, v2, -v8
	v_mul_f32_e32 v3, v9, v3
	v_fmac_f32_e32 v3, v10, v2
	v_add_f32_e32 v2, v6, v8
	v_mul_f32_e32 v6, v12, v5
	v_add_f32_e32 v3, v7, v3
	v_fma_f32 v10, v11, v4, -v6
	ds_read2_b64 v[6:9], v23 offset0:64 offset1:96
	v_mul_f32_e32 v5, v11, v5
	v_fmac_f32_e32 v5, v12, v4
	v_add_f32_e32 v2, v2, v10
	v_add_f32_e32 v3, v3, v5
	s_waitcnt lgkmcnt(0)
	v_mul_f32_e32 v4, v7, v29
	v_fma_f32 v4, v6, v28, -v4
	v_mul_f32_e32 v5, v6, v29
	v_fmac_f32_e32 v5, v7, v28
	v_add_f32_e32 v6, v2, v4
	v_mul_f32_e32 v2, v9, v31
	v_add_f32_e32 v7, v3, v5
	v_fma_f32 v28, v8, v30, -v2
	ds_read_b128 v[2:5], v17 offset:96
	ds_read2_b64 v[10:13], v23 offset0:128 offset1:160
	v_mul_f32_e32 v8, v8, v31
	v_fmac_f32_e32 v8, v9, v30
	v_add_f32_e32 v28, v6, v28
	v_add_f32_e32 v29, v7, v8
	s_waitcnt lgkmcnt(0)
	v_mul_f32_e32 v30, v11, v3
	v_mul_f32_e32 v3, v10, v3
	v_fma_f32 v30, v10, v2, -v30
	v_fmac_f32_e32 v3, v11, v2
	ds_read_b128 v[6:9], v17 offset:112
	v_add_f32_e32 v2, v28, v30
	v_add_f32_e32 v3, v29, v3
	ds_read2_b64 v[28:31], v23 offset0:192 offset1:224
	v_mul_f32_e32 v10, v13, v5
	v_mul_f32_e32 v5, v12, v5
	v_fma_f32 v10, v12, v4, -v10
	v_fmac_f32_e32 v5, v13, v4
	s_waitcnt lgkmcnt(0)
	v_mul_f32_e32 v4, v29, v7
	v_add_f32_e32 v2, v2, v10
	v_add_f32_e32 v3, v3, v5
	v_fma_f32 v4, v28, v6, -v4
	v_mul_f32_e32 v5, v28, v7
	v_fmac_f32_e32 v5, v29, v6
	v_add_f32_e32 v6, v2, v4
	v_mul_f32_e32 v2, v31, v9
	v_add_f32_e32 v7, v3, v5
	v_fma_f32 v13, v30, v8, -v2
	v_mul_f32_e32 v28, v30, v9
	ds_read_b128 v[2:5], v17 offset:128
	ds_read2_b64 v[9:12], v24 offset1:32
	v_fmac_f32_e32 v28, v31, v8
	v_add_f32_e32 v6, v6, v13
	v_add_f32_e32 v7, v7, v28
	ds_read_b128 v[28:31], v17 offset:144
	s_waitcnt lgkmcnt(1)
	v_mul_f32_e32 v8, v10, v3
	v_fma_f32 v8, v9, v2, -v8
	v_mul_f32_e32 v3, v9, v3
	ds_read2_b64 v[32:35], v24 offset0:64 offset1:96
	v_fmac_f32_e32 v3, v10, v2
	v_add_f32_e32 v2, v6, v8
	v_mul_f32_e32 v6, v12, v5
	v_fma_f32 v6, v11, v4, -v6
	v_mul_f32_e32 v5, v11, v5
	v_add_f32_e32 v3, v7, v3
	v_fmac_f32_e32 v5, v12, v4
	v_add_f32_e32 v2, v2, v6
	ds_read_b128 v[6:9], v17 offset:160
	ds_read2_b64 v[10:13], v24 offset0:128 offset1:160
	v_add_f32_e32 v3, v3, v5
	s_waitcnt lgkmcnt(2)
	v_mul_f32_e32 v4, v33, v29
	v_mul_f32_e32 v5, v32, v29
	v_fma_f32 v4, v32, v28, -v4
	v_fmac_f32_e32 v5, v33, v28
	v_add_f32_e32 v2, v2, v4
	v_add_f32_e32 v3, v3, v5
	v_mul_f32_e32 v4, v35, v31
	v_mul_f32_e32 v5, v34, v31
	v_fma_f32 v4, v34, v30, -v4
	v_fmac_f32_e32 v5, v35, v30
	s_waitcnt lgkmcnt(0)
	v_mul_f32_e32 v30, v11, v7
	v_mul_f32_e32 v31, v10, v7
	v_fma_f32 v30, v10, v6, -v30
	v_fmac_f32_e32 v31, v11, v6
	v_mul_f32_e32 v6, v13, v9
	v_fma_f32 v32, v12, v8, -v6
	global_load_dwordx2 v[6:7], v[15:16], off
	v_mul_f32_e32 v12, v12, v9
	v_add_f32_e32 v28, v2, v4
	v_add_f32_e32 v29, v3, v5
	ds_read_b128 v[2:5], v17 offset:176
	v_fmac_f32_e32 v12, v13, v8
	ds_read2_b64 v[8:11], v24 offset0:192 offset1:224
	v_add_f32_e32 v13, v28, v30
	v_add_f32_e32 v28, v29, v31
	;; [unrolled: 1-line block ×4, first 2 shown]
	s_waitcnt lgkmcnt(0)
	v_mul_f32_e32 v28, v9, v3
	v_mul_f32_e32 v29, v8, v3
	v_fma_f32 v28, v8, v2, -v28
	v_fmac_f32_e32 v29, v9, v2
	v_mul_f32_e32 v2, v11, v5
	v_mul_f32_e32 v30, v10, v5
	v_add_f32_e32 v13, v13, v28
	v_fma_f32 v28, v10, v4, -v2
	v_fmac_f32_e32 v30, v11, v4
	ds_read_b128 v[2:5], v17 offset:192
	ds_read2_b64 v[8:11], v25 offset1:32
	v_add_f32_e32 v12, v12, v29
	v_add_f32_e32 v13, v13, v28
	;; [unrolled: 1-line block ×3, first 2 shown]
	ds_read_b128 v[28:31], v17 offset:208
	s_waitcnt lgkmcnt(1)
	v_mul_f32_e32 v32, v9, v3
	v_fma_f32 v32, v8, v2, -v32
	v_mul_f32_e32 v8, v8, v3
	v_fmac_f32_e32 v8, v9, v2
	v_mul_f32_e32 v2, v11, v5
	v_fma_f32 v9, v10, v4, -v2
	v_mul_f32_e32 v10, v10, v5
	v_fmac_f32_e32 v10, v11, v4
	ds_read2_b64 v[2:5], v25 offset0:64 offset1:96
	v_add_f32_e32 v8, v12, v8
	v_add_f32_e32 v11, v13, v32
	;; [unrolled: 1-line block ×4, first 2 shown]
	s_waitcnt lgkmcnt(0)
	v_mul_f32_e32 v8, v3, v29
	v_fma_f32 v8, v2, v28, -v8
	v_mul_f32_e32 v13, v2, v29
	v_mul_f32_e32 v2, v5, v31
	;; [unrolled: 1-line block ×3, first 2 shown]
	v_fmac_f32_e32 v13, v3, v28
	v_add_f32_e32 v28, v9, v8
	v_fma_f32 v29, v4, v30, -v2
	v_fmac_f32_e32 v31, v5, v30
	ds_read_b128 v[2:5], v17 offset:224
	ds_read2_b64 v[8:11], v25 offset0:128 offset1:160
	v_add_f32_e32 v12, v12, v13
	v_add_f32_e32 v13, v28, v29
	;; [unrolled: 1-line block ×3, first 2 shown]
	ds_read_b128 v[28:31], v17 offset:240
	s_waitcnt lgkmcnt(1)
	v_mul_f32_e32 v32, v9, v3
	v_fma_f32 v32, v8, v2, -v32
	v_mul_f32_e32 v8, v8, v3
	v_fmac_f32_e32 v8, v9, v2
	v_mul_f32_e32 v2, v11, v5
	v_fma_f32 v9, v10, v4, -v2
	v_mul_f32_e32 v10, v10, v5
	v_fmac_f32_e32 v10, v11, v4
	ds_read2_b64 v[2:5], v25 offset0:192 offset1:224
	v_add_f32_e32 v8, v12, v8
	v_add_f32_e32 v8, v8, v10
	;; [unrolled: 1-line block ×4, first 2 shown]
	s_waitcnt lgkmcnt(0)
	v_mul_f32_e32 v10, v3, v29
	v_fma_f32 v10, v2, v28, -v10
	v_mul_f32_e32 v2, v2, v29
	v_fmac_f32_e32 v2, v3, v28
	v_add_f32_e32 v2, v8, v2
	v_mul_f32_e32 v8, v5, v31
	v_fma_f32 v8, v4, v30, -v8
	v_mul_f32_e32 v4, v4, v31
	v_fmac_f32_e32 v4, v5, v30
	v_add_f32_e32 v3, v9, v10
	v_add_f32_e32 v2, v2, v4
	;; [unrolled: 1-line block ×3, first 2 shown]
	v_mul_f32_e32 v4, s11, v2
	v_fma_f32 v4, s10, v3, -v4
	v_mul_f32_e32 v3, s11, v3
	v_fmac_f32_e32 v3, s10, v2
	s_waitcnt vmcnt(0)
	v_add_f32_e32 v2, v6, v4
	v_add_f32_e32 v3, v7, v3
	global_store_dwordx2 v[15:16], v[2:3], off
	s_branch .LBB13_6
.LBB13_13:
	s_endpgm
	.section	.rodata,"a",@progbits
	.p2align	6, 0x0
	.amdhsa_kernel _ZL24rocblas_symm_hemm_kernelILb0ELb0ELi32EPK19rocblas_complex_numIfES3_PS1_EvbiiT2_T3_lllS6_lllT4_llli
		.amdhsa_group_segment_fixed_size 16384
		.amdhsa_private_segment_fixed_size 0
		.amdhsa_kernarg_size 384
		.amdhsa_user_sgpr_count 6
		.amdhsa_user_sgpr_private_segment_buffer 1
		.amdhsa_user_sgpr_dispatch_ptr 0
		.amdhsa_user_sgpr_queue_ptr 0
		.amdhsa_user_sgpr_kernarg_segment_ptr 1
		.amdhsa_user_sgpr_dispatch_id 0
		.amdhsa_user_sgpr_flat_scratch_init 0
		.amdhsa_user_sgpr_private_segment_size 0
		.amdhsa_uses_dynamic_stack 0
		.amdhsa_system_sgpr_private_segment_wavefront_offset 0
		.amdhsa_system_sgpr_workgroup_id_x 1
		.amdhsa_system_sgpr_workgroup_id_y 1
		.amdhsa_system_sgpr_workgroup_id_z 1
		.amdhsa_system_sgpr_workgroup_info 0
		.amdhsa_system_vgpr_workitem_id 1
		.amdhsa_next_free_vgpr 37
		.amdhsa_next_free_sgpr 61
		.amdhsa_reserve_vcc 1
		.amdhsa_reserve_flat_scratch 0
		.amdhsa_float_round_mode_32 0
		.amdhsa_float_round_mode_16_64 0
		.amdhsa_float_denorm_mode_32 3
		.amdhsa_float_denorm_mode_16_64 3
		.amdhsa_dx10_clamp 1
		.amdhsa_ieee_mode 1
		.amdhsa_fp16_overflow 0
		.amdhsa_exception_fp_ieee_invalid_op 0
		.amdhsa_exception_fp_denorm_src 0
		.amdhsa_exception_fp_ieee_div_zero 0
		.amdhsa_exception_fp_ieee_overflow 0
		.amdhsa_exception_fp_ieee_underflow 0
		.amdhsa_exception_fp_ieee_inexact 0
		.amdhsa_exception_int_div_zero 0
	.end_amdhsa_kernel
	.section	.text._ZL24rocblas_symm_hemm_kernelILb0ELb0ELi32EPK19rocblas_complex_numIfES3_PS1_EvbiiT2_T3_lllS6_lllT4_llli,"axG",@progbits,_ZL24rocblas_symm_hemm_kernelILb0ELb0ELi32EPK19rocblas_complex_numIfES3_PS1_EvbiiT2_T3_lllS6_lllT4_llli,comdat
.Lfunc_end13:
	.size	_ZL24rocblas_symm_hemm_kernelILb0ELb0ELi32EPK19rocblas_complex_numIfES3_PS1_EvbiiT2_T3_lllS6_lllT4_llli, .Lfunc_end13-_ZL24rocblas_symm_hemm_kernelILb0ELb0ELi32EPK19rocblas_complex_numIfES3_PS1_EvbiiT2_T3_lllS6_lllT4_llli
                                        ; -- End function
	.set _ZL24rocblas_symm_hemm_kernelILb0ELb0ELi32EPK19rocblas_complex_numIfES3_PS1_EvbiiT2_T3_lllS6_lllT4_llli.num_vgpr, 37
	.set _ZL24rocblas_symm_hemm_kernelILb0ELb0ELi32EPK19rocblas_complex_numIfES3_PS1_EvbiiT2_T3_lllS6_lllT4_llli.num_agpr, 0
	.set _ZL24rocblas_symm_hemm_kernelILb0ELb0ELi32EPK19rocblas_complex_numIfES3_PS1_EvbiiT2_T3_lllS6_lllT4_llli.numbered_sgpr, 44
	.set _ZL24rocblas_symm_hemm_kernelILb0ELb0ELi32EPK19rocblas_complex_numIfES3_PS1_EvbiiT2_T3_lllS6_lllT4_llli.num_named_barrier, 0
	.set _ZL24rocblas_symm_hemm_kernelILb0ELb0ELi32EPK19rocblas_complex_numIfES3_PS1_EvbiiT2_T3_lllS6_lllT4_llli.private_seg_size, 0
	.set _ZL24rocblas_symm_hemm_kernelILb0ELb0ELi32EPK19rocblas_complex_numIfES3_PS1_EvbiiT2_T3_lllS6_lllT4_llli.uses_vcc, 1
	.set _ZL24rocblas_symm_hemm_kernelILb0ELb0ELi32EPK19rocblas_complex_numIfES3_PS1_EvbiiT2_T3_lllS6_lllT4_llli.uses_flat_scratch, 0
	.set _ZL24rocblas_symm_hemm_kernelILb0ELb0ELi32EPK19rocblas_complex_numIfES3_PS1_EvbiiT2_T3_lllS6_lllT4_llli.has_dyn_sized_stack, 0
	.set _ZL24rocblas_symm_hemm_kernelILb0ELb0ELi32EPK19rocblas_complex_numIfES3_PS1_EvbiiT2_T3_lllS6_lllT4_llli.has_recursion, 0
	.set _ZL24rocblas_symm_hemm_kernelILb0ELb0ELi32EPK19rocblas_complex_numIfES3_PS1_EvbiiT2_T3_lllS6_lllT4_llli.has_indirect_call, 0
	.section	.AMDGPU.csdata,"",@progbits
; Kernel info:
; codeLenInByte = 2116
; TotalNumSgprs: 48
; NumVgprs: 37
; ScratchSize: 0
; MemoryBound: 0
; FloatMode: 240
; IeeeMode: 1
; LDSByteSize: 16384 bytes/workgroup (compile time only)
; SGPRBlocks: 8
; VGPRBlocks: 9
; NumSGPRsForWavesPerEU: 65
; NumVGPRsForWavesPerEU: 37
; Occupancy: 6
; WaveLimiterHint : 0
; COMPUTE_PGM_RSRC2:SCRATCH_EN: 0
; COMPUTE_PGM_RSRC2:USER_SGPR: 6
; COMPUTE_PGM_RSRC2:TRAP_HANDLER: 0
; COMPUTE_PGM_RSRC2:TGID_X_EN: 1
; COMPUTE_PGM_RSRC2:TGID_Y_EN: 1
; COMPUTE_PGM_RSRC2:TGID_Z_EN: 1
; COMPUTE_PGM_RSRC2:TIDIG_COMP_CNT: 1
	.section	.text._ZL24rocblas_symm_hemm_kernelILb0ELb1ELi32EPK19rocblas_complex_numIfES3_PS1_EvbiiT2_T3_lllS6_lllT4_llli,"axG",@progbits,_ZL24rocblas_symm_hemm_kernelILb0ELb1ELi32EPK19rocblas_complex_numIfES3_PS1_EvbiiT2_T3_lllS6_lllT4_llli,comdat
	.globl	_ZL24rocblas_symm_hemm_kernelILb0ELb1ELi32EPK19rocblas_complex_numIfES3_PS1_EvbiiT2_T3_lllS6_lllT4_llli ; -- Begin function _ZL24rocblas_symm_hemm_kernelILb0ELb1ELi32EPK19rocblas_complex_numIfES3_PS1_EvbiiT2_T3_lllS6_lllT4_llli
	.p2align	8
	.type	_ZL24rocblas_symm_hemm_kernelILb0ELb1ELi32EPK19rocblas_complex_numIfES3_PS1_EvbiiT2_T3_lllS6_lllT4_llli,@function
_ZL24rocblas_symm_hemm_kernelILb0ELb1ELi32EPK19rocblas_complex_numIfES3_PS1_EvbiiT2_T3_lllS6_lllT4_llli: ; @_ZL24rocblas_symm_hemm_kernelILb0ELb1ELi32EPK19rocblas_complex_numIfES3_PS1_EvbiiT2_T3_lllS6_lllT4_llli
; %bb.0:
	s_load_dwordx16 s[12:27], s[4:5], 0x10
	s_waitcnt lgkmcnt(0)
	s_load_dwordx2 s[10:11], s[12:13], 0x0
	s_waitcnt lgkmcnt(0)
	v_cmp_eq_f32_e64 s[0:1], s10, 0
	v_cmp_eq_f32_e64 s[2:3], s11, 0
	s_and_b64 s[0:1], s[0:1], s[2:3]
	s_and_b64 vcc, exec, s[0:1]
	s_cbranch_vccnz .LBB14_13
; %bb.1:
	s_load_dwordx4 s[28:31], s[4:5], 0x0
	s_waitcnt lgkmcnt(0)
	s_add_i32 s0, s30, -1
	s_ashr_i32 s1, s0, 31
	s_lshr_b32 s1, s1, 27
	s_add_i32 s0, s0, s1
	s_ashr_i32 s31, s0, 5
	s_cmp_gt_i32 s7, s31
	s_cbranch_scc1 .LBB14_13
; %bb.2:
	s_mul_i32 s0, s21, s8
	s_mul_hi_u32 s1, s20, s8
	s_add_i32 s1, s1, s0
	s_mul_i32 s0, s20, s8
	s_lshl_b64 s[0:1], s[0:1], 3
	s_add_u32 s2, s14, s0
	s_addc_u32 s3, s15, s1
	s_lshl_b64 s[0:1], s[16:17], 3
	s_add_u32 s14, s2, s0
	s_addc_u32 s15, s3, s1
	s_load_dwordx2 s[2:3], s[4:5], 0x70
	s_load_dwordx8 s[36:43], s[4:5], 0x50
	s_load_dword s16, s[4:5], 0x84
	s_bitcmp1_b32 s28, 0
	s_cselect_b64 s[0:1], -1, 0
	v_lshl_add_u32 v2, s6, 5, v0
	s_waitcnt lgkmcnt(0)
	s_mul_i32 s3, s3, s8
	s_mul_hi_u32 s4, s2, s8
	s_add_i32 s3, s4, s3
	s_mul_i32 s2, s2, s8
	s_lshl_b64 s[2:3], s[2:3], 3
	s_add_u32 s4, s38, s2
	s_addc_u32 s5, s39, s3
	s_lshl_b64 s[2:3], s[40:41], 3
	s_add_u32 s4, s4, s2
	s_addc_u32 s5, s5, s3
	s_mul_i32 s2, s37, s8
	s_mul_hi_u32 s3, s36, s8
	s_add_i32 s3, s3, s2
	s_mul_i32 s2, s36, s8
	s_lshl_b64 s[2:3], s[2:3], 3
	s_add_u32 s8, s22, s2
	s_addc_u32 s9, s23, s3
	s_lshl_b64 s[2:3], s[24:25], 3
	s_add_u32 s8, s8, s2
	v_ashrrev_i32_e32 v3, 31, v2
	s_addc_u32 s9, s9, s3
	v_cmp_gt_i32_e64 s[2:3], s29, v2
	v_lshlrev_b64 v[2:3], 3, v[2:3]
	v_mov_b32_e32 v4, s9
	v_add_co_u32_e32 v16, vcc, s8, v2
	s_cmp_gt_i32 s30, 0
	v_addc_co_u32_e32 v17, vcc, v4, v3, vcc
	v_lshlrev_b32_e32 v18, 8, v0
	v_lshlrev_b32_e32 v4, 3, v1
	v_add_u32_e32 v19, v18, v4
	v_or_b32_e32 v20, 0x2000, v4
	v_mov_b32_e32 v4, s5
	v_add_co_u32_e32 v22, vcc, s4, v2
	s_cselect_b64 s[4:5], -1, 0
	v_cndmask_b32_e64 v2, 0, 1, s[4:5]
	v_add_u32_e32 v21, v20, v18
	v_addc_co_u32_e32 v23, vcc, v4, v3, vcc
	v_cmp_ne_u32_e64 s[4:5], 1, v2
	v_add_u32_e32 v24, 0x800, v20
	v_add_u32_e32 v25, 0x1000, v20
	v_add_u32_e32 v26, 0x1800, v20
	s_branch .LBB14_4
.LBB14_3:                               ;   in Loop: Header=BB14_4 Depth=1
	s_add_i32 s7, s7, s16
	s_cmp_gt_i32 s7, s31
	s_cbranch_scc1 .LBB14_13
.LBB14_4:                               ; =>This Loop Header: Depth=1
                                        ;     Child Loop BB14_7 Depth 2
	s_and_b64 vcc, exec, s[4:5]
	s_cbranch_vccnz .LBB14_3
; %bb.5:                                ;   in Loop: Header=BB14_4 Depth=1
	v_lshl_add_u32 v27, s7, 5, v1
	v_ashrrev_i32_e32 v2, 31, v27
	v_mul_lo_u32 v4, s42, v2
	v_mul_lo_u32 v5, s43, v27
	v_mad_u64_u32 v[2:3], s[8:9], s42, v27, 0
	v_cmp_gt_i32_e32 vcc, s30, v27
	s_and_b64 s[8:9], s[2:3], vcc
	v_add3_u32 v3, v3, v4, v5
	v_lshlrev_b64 v[2:3], 3, v[2:3]
	s_mov_b32 s6, 0
	v_add_co_u32_e32 v14, vcc, v22, v2
	v_addc_co_u32_e32 v15, vcc, v23, v3, vcc
	s_branch .LBB14_7
.LBB14_6:                               ;   in Loop: Header=BB14_7 Depth=2
	s_or_b64 exec, exec, s[12:13]
	s_add_i32 s6, s6, 32
	s_cmp_ge_i32 s6, s30
	s_waitcnt vmcnt(0)
	s_barrier
	s_cbranch_scc1 .LBB14_3
.LBB14_7:                               ;   Parent Loop BB14_4 Depth=1
                                        ; =>  This Inner Loop Header: Depth=2
	v_add_u32_e32 v5, s6, v1
	v_cmp_gt_i32_e32 vcc, s30, v5
	s_and_b64 s[20:21], s[2:3], vcc
	v_mov_b32_e32 v2, 0
	v_mov_b32_e32 v3, 0
	;; [unrolled: 1-line block ×3, first 2 shown]
	s_and_saveexec_b64 s[12:13], s[20:21]
	s_cbranch_execz .LBB14_9
; %bb.8:                                ;   in Loop: Header=BB14_7 Depth=2
	v_ashrrev_i32_e32 v6, 31, v5
	v_mul_lo_u32 v7, s27, v5
	v_mad_u64_u32 v[3:4], s[20:21], s26, v5, 0
	v_mul_lo_u32 v5, s26, v6
	v_add3_u32 v4, v4, v5, v7
	v_lshlrev_b64 v[3:4], 3, v[3:4]
	v_add_co_u32_e32 v3, vcc, v16, v3
	v_addc_co_u32_e32 v4, vcc, v17, v4, vcc
	global_load_dwordx2 v[3:4], v[3:4], off
.LBB14_9:                               ;   in Loop: Header=BB14_7 Depth=2
	s_or_b64 exec, exec, s[12:13]
	s_waitcnt vmcnt(0)
	ds_write_b64 v19, v[3:4]
	v_add_u32_e32 v3, s6, v0
	v_cndmask_b32_e64 v4, v27, v3, s[0:1]
	v_cndmask_b32_e64 v5, v3, v27, s[0:1]
	v_cmp_gt_i32_e32 vcc, v4, v5
	v_cndmask_b32_e32 v4, v3, v27, vcc
	v_cndmask_b32_e32 v5, v27, v3, vcc
	v_max_i32_e32 v3, v4, v5
	v_cmp_gt_i32_e32 vcc, s30, v3
	v_mov_b32_e32 v3, 0
	s_and_saveexec_b64 s[12:13], vcc
	s_cbranch_execz .LBB14_11
; %bb.10:                               ;   in Loop: Header=BB14_7 Depth=2
	v_ashrrev_i32_e32 v6, 31, v5
	v_mul_lo_u32 v7, s19, v5
	v_mad_u64_u32 v[2:3], s[20:21], s18, v5, 0
	v_mul_lo_u32 v5, s18, v6
	v_mov_b32_e32 v6, s15
	v_add3_u32 v3, v3, v5, v7
	v_lshlrev_b64 v[2:3], 3, v[2:3]
	v_ashrrev_i32_e32 v5, 31, v4
	v_add_co_u32_e32 v7, vcc, s14, v2
	v_addc_co_u32_e32 v6, vcc, v6, v3, vcc
	v_lshlrev_b64 v[2:3], 3, v[4:5]
	v_add_co_u32_e32 v2, vcc, v7, v2
	v_addc_co_u32_e32 v3, vcc, v6, v3, vcc
	global_load_dwordx2 v[2:3], v[2:3], off
.LBB14_11:                              ;   in Loop: Header=BB14_7 Depth=2
	s_or_b64 exec, exec, s[12:13]
	s_waitcnt vmcnt(0)
	ds_write_b64 v21, v[2:3]
	s_waitcnt lgkmcnt(0)
	s_barrier
	s_and_saveexec_b64 s[12:13], s[8:9]
	s_cbranch_execz .LBB14_6
; %bb.12:                               ;   in Loop: Header=BB14_7 Depth=2
	ds_read2_b64 v[2:5], v20 offset1:32
	ds_read_b128 v[6:9], v18
	ds_read_b128 v[10:13], v18 offset:16
	s_waitcnt lgkmcnt(1)
	v_mul_f32_e32 v28, v3, v7
	v_fma_f32 v33, v2, v6, -v28
	ds_read2_b64 v[28:31], v20 offset0:64 offset1:96
	v_mul_f32_e32 v32, v2, v7
	v_mul_f32_e32 v2, v5, v9
	v_fma_f32 v34, v4, v8, -v2
	v_fmac_f32_e32 v32, v3, v6
	s_waitcnt lgkmcnt(0)
	v_mul_f32_e32 v2, v29, v11
	v_mul_f32_e32 v35, v4, v9
	v_fma_f32 v36, v28, v10, -v2
	v_mul_f32_e32 v28, v28, v11
	v_mul_f32_e32 v2, v31, v13
	v_fmac_f32_e32 v35, v5, v8
	v_fmac_f32_e32 v28, v29, v10
	v_fma_f32 v29, v30, v12, -v2
	v_mul_f32_e32 v30, v30, v13
	v_add_f32_e32 v10, 0, v33
	v_add_f32_e32 v11, 0, v32
	v_fmac_f32_e32 v30, v31, v12
	ds_read_b128 v[2:5], v18 offset:32
	ds_read_b128 v[6:9], v18 offset:48
	v_add_f32_e32 v31, v10, v34
	v_add_f32_e32 v32, v11, v35
	ds_read2_b64 v[10:13], v20 offset0:128 offset1:160
	v_add_f32_e32 v28, v32, v28
	v_add_f32_e32 v31, v31, v36
	;; [unrolled: 1-line block ×4, first 2 shown]
	s_waitcnt lgkmcnt(0)
	v_mul_f32_e32 v30, v11, v3
	v_mul_f32_e32 v3, v10, v3
	v_fma_f32 v30, v10, v2, -v30
	v_fmac_f32_e32 v3, v11, v2
	v_add_f32_e32 v2, v29, v30
	v_add_f32_e32 v3, v28, v3
	ds_read2_b64 v[28:31], v20 offset0:192 offset1:224
	v_mul_f32_e32 v10, v13, v5
	v_mul_f32_e32 v5, v12, v5
	v_fma_f32 v10, v12, v4, -v10
	v_fmac_f32_e32 v5, v13, v4
	s_waitcnt lgkmcnt(0)
	v_mul_f32_e32 v4, v29, v7
	v_add_f32_e32 v2, v2, v10
	v_add_f32_e32 v3, v3, v5
	v_fma_f32 v4, v28, v6, -v4
	v_mul_f32_e32 v5, v28, v7
	v_fmac_f32_e32 v5, v29, v6
	v_add_f32_e32 v6, v2, v4
	v_mul_f32_e32 v2, v31, v9
	v_add_f32_e32 v7, v3, v5
	v_fma_f32 v13, v30, v8, -v2
	v_mul_f32_e32 v28, v30, v9
	ds_read_b128 v[2:5], v18 offset:64
	ds_read2_b64 v[9:12], v24 offset1:32
	v_fmac_f32_e32 v28, v31, v8
	v_add_f32_e32 v6, v6, v13
	v_add_f32_e32 v7, v7, v28
	ds_read_b128 v[28:31], v18 offset:80
	s_waitcnt lgkmcnt(1)
	v_mul_f32_e32 v8, v10, v3
	v_fma_f32 v8, v9, v2, -v8
	v_mul_f32_e32 v3, v9, v3
	v_fmac_f32_e32 v3, v10, v2
	v_add_f32_e32 v2, v6, v8
	v_mul_f32_e32 v6, v12, v5
	v_add_f32_e32 v3, v7, v3
	v_fma_f32 v10, v11, v4, -v6
	ds_read2_b64 v[6:9], v24 offset0:64 offset1:96
	v_mul_f32_e32 v5, v11, v5
	v_fmac_f32_e32 v5, v12, v4
	v_add_f32_e32 v2, v2, v10
	v_add_f32_e32 v3, v3, v5
	s_waitcnt lgkmcnt(0)
	v_mul_f32_e32 v4, v7, v29
	v_fma_f32 v4, v6, v28, -v4
	v_mul_f32_e32 v5, v6, v29
	v_fmac_f32_e32 v5, v7, v28
	v_add_f32_e32 v6, v2, v4
	v_mul_f32_e32 v2, v9, v31
	v_add_f32_e32 v7, v3, v5
	v_fma_f32 v28, v8, v30, -v2
	ds_read_b128 v[2:5], v18 offset:96
	ds_read2_b64 v[10:13], v24 offset0:128 offset1:160
	v_mul_f32_e32 v8, v8, v31
	v_fmac_f32_e32 v8, v9, v30
	v_add_f32_e32 v28, v6, v28
	v_add_f32_e32 v29, v7, v8
	s_waitcnt lgkmcnt(0)
	v_mul_f32_e32 v30, v11, v3
	v_mul_f32_e32 v3, v10, v3
	v_fma_f32 v30, v10, v2, -v30
	v_fmac_f32_e32 v3, v11, v2
	ds_read_b128 v[6:9], v18 offset:112
	v_add_f32_e32 v2, v28, v30
	v_add_f32_e32 v3, v29, v3
	ds_read2_b64 v[28:31], v24 offset0:192 offset1:224
	v_mul_f32_e32 v10, v13, v5
	v_mul_f32_e32 v5, v12, v5
	v_fma_f32 v10, v12, v4, -v10
	v_fmac_f32_e32 v5, v13, v4
	s_waitcnt lgkmcnt(0)
	v_mul_f32_e32 v4, v29, v7
	v_add_f32_e32 v2, v2, v10
	v_add_f32_e32 v3, v3, v5
	v_fma_f32 v4, v28, v6, -v4
	v_mul_f32_e32 v5, v28, v7
	v_fmac_f32_e32 v5, v29, v6
	v_add_f32_e32 v6, v2, v4
	v_mul_f32_e32 v2, v31, v9
	v_add_f32_e32 v7, v3, v5
	v_fma_f32 v13, v30, v8, -v2
	v_mul_f32_e32 v28, v30, v9
	ds_read_b128 v[2:5], v18 offset:128
	ds_read2_b64 v[9:12], v25 offset1:32
	v_fmac_f32_e32 v28, v31, v8
	v_add_f32_e32 v6, v6, v13
	v_add_f32_e32 v7, v7, v28
	ds_read_b128 v[28:31], v18 offset:144
	s_waitcnt lgkmcnt(1)
	v_mul_f32_e32 v8, v10, v3
	v_fma_f32 v8, v9, v2, -v8
	v_mul_f32_e32 v3, v9, v3
	ds_read2_b64 v[32:35], v25 offset0:64 offset1:96
	v_fmac_f32_e32 v3, v10, v2
	v_add_f32_e32 v2, v6, v8
	v_mul_f32_e32 v6, v12, v5
	v_fma_f32 v6, v11, v4, -v6
	v_mul_f32_e32 v5, v11, v5
	v_add_f32_e32 v3, v7, v3
	v_fmac_f32_e32 v5, v12, v4
	v_add_f32_e32 v2, v2, v6
	ds_read_b128 v[6:9], v18 offset:160
	ds_read2_b64 v[10:13], v25 offset0:128 offset1:160
	v_add_f32_e32 v3, v3, v5
	s_waitcnt lgkmcnt(2)
	v_mul_f32_e32 v4, v33, v29
	v_mul_f32_e32 v5, v32, v29
	v_fma_f32 v4, v32, v28, -v4
	v_fmac_f32_e32 v5, v33, v28
	v_add_f32_e32 v2, v2, v4
	v_add_f32_e32 v3, v3, v5
	v_mul_f32_e32 v4, v35, v31
	v_mul_f32_e32 v5, v34, v31
	v_fma_f32 v4, v34, v30, -v4
	v_fmac_f32_e32 v5, v35, v30
	s_waitcnt lgkmcnt(0)
	v_mul_f32_e32 v30, v11, v7
	v_mul_f32_e32 v31, v10, v7
	v_fma_f32 v30, v10, v6, -v30
	v_fmac_f32_e32 v31, v11, v6
	v_mul_f32_e32 v6, v13, v9
	v_fma_f32 v32, v12, v8, -v6
	global_load_dwordx2 v[6:7], v[14:15], off
	v_mul_f32_e32 v12, v12, v9
	v_add_f32_e32 v28, v2, v4
	v_add_f32_e32 v29, v3, v5
	ds_read_b128 v[2:5], v18 offset:176
	v_fmac_f32_e32 v12, v13, v8
	ds_read2_b64 v[8:11], v25 offset0:192 offset1:224
	v_add_f32_e32 v13, v28, v30
	v_add_f32_e32 v28, v29, v31
	;; [unrolled: 1-line block ×4, first 2 shown]
	s_waitcnt lgkmcnt(0)
	v_mul_f32_e32 v28, v9, v3
	v_mul_f32_e32 v29, v8, v3
	v_fma_f32 v28, v8, v2, -v28
	v_fmac_f32_e32 v29, v9, v2
	v_mul_f32_e32 v2, v11, v5
	v_mul_f32_e32 v30, v10, v5
	v_add_f32_e32 v13, v13, v28
	v_fma_f32 v28, v10, v4, -v2
	v_fmac_f32_e32 v30, v11, v4
	ds_read_b128 v[2:5], v18 offset:192
	ds_read2_b64 v[8:11], v26 offset1:32
	v_add_f32_e32 v12, v12, v29
	v_add_f32_e32 v13, v13, v28
	;; [unrolled: 1-line block ×3, first 2 shown]
	ds_read_b128 v[28:31], v18 offset:208
	s_waitcnt lgkmcnt(1)
	v_mul_f32_e32 v32, v9, v3
	v_fma_f32 v32, v8, v2, -v32
	v_mul_f32_e32 v8, v8, v3
	v_fmac_f32_e32 v8, v9, v2
	v_mul_f32_e32 v2, v11, v5
	v_fma_f32 v9, v10, v4, -v2
	v_mul_f32_e32 v10, v10, v5
	v_fmac_f32_e32 v10, v11, v4
	ds_read2_b64 v[2:5], v26 offset0:64 offset1:96
	v_add_f32_e32 v8, v12, v8
	v_add_f32_e32 v11, v13, v32
	;; [unrolled: 1-line block ×4, first 2 shown]
	s_waitcnt lgkmcnt(0)
	v_mul_f32_e32 v8, v3, v29
	v_fma_f32 v8, v2, v28, -v8
	v_mul_f32_e32 v13, v2, v29
	v_mul_f32_e32 v2, v5, v31
	;; [unrolled: 1-line block ×3, first 2 shown]
	v_fmac_f32_e32 v13, v3, v28
	v_add_f32_e32 v28, v9, v8
	v_fma_f32 v29, v4, v30, -v2
	v_fmac_f32_e32 v31, v5, v30
	ds_read_b128 v[2:5], v18 offset:224
	ds_read2_b64 v[8:11], v26 offset0:128 offset1:160
	v_add_f32_e32 v12, v12, v13
	v_add_f32_e32 v13, v28, v29
	;; [unrolled: 1-line block ×3, first 2 shown]
	ds_read_b128 v[28:31], v18 offset:240
	s_waitcnt lgkmcnt(1)
	v_mul_f32_e32 v32, v9, v3
	v_fma_f32 v32, v8, v2, -v32
	v_mul_f32_e32 v8, v8, v3
	v_fmac_f32_e32 v8, v9, v2
	v_mul_f32_e32 v2, v11, v5
	v_fma_f32 v9, v10, v4, -v2
	v_mul_f32_e32 v10, v10, v5
	v_fmac_f32_e32 v10, v11, v4
	ds_read2_b64 v[2:5], v26 offset0:192 offset1:224
	v_add_f32_e32 v8, v12, v8
	v_add_f32_e32 v8, v8, v10
	;; [unrolled: 1-line block ×4, first 2 shown]
	s_waitcnt lgkmcnt(0)
	v_mul_f32_e32 v10, v3, v29
	v_fma_f32 v10, v2, v28, -v10
	v_mul_f32_e32 v2, v2, v29
	v_fmac_f32_e32 v2, v3, v28
	v_add_f32_e32 v2, v8, v2
	v_mul_f32_e32 v8, v5, v31
	v_fma_f32 v8, v4, v30, -v8
	v_mul_f32_e32 v4, v4, v31
	v_fmac_f32_e32 v4, v5, v30
	v_add_f32_e32 v3, v9, v10
	v_add_f32_e32 v2, v2, v4
	;; [unrolled: 1-line block ×3, first 2 shown]
	v_mul_f32_e32 v4, s11, v2
	v_fma_f32 v4, s10, v3, -v4
	v_mul_f32_e32 v3, s11, v3
	v_fmac_f32_e32 v3, s10, v2
	s_waitcnt vmcnt(0)
	v_add_f32_e32 v2, v6, v4
	v_add_f32_e32 v3, v7, v3
	global_store_dwordx2 v[14:15], v[2:3], off
	s_branch .LBB14_6
.LBB14_13:
	s_endpgm
	.section	.rodata,"a",@progbits
	.p2align	6, 0x0
	.amdhsa_kernel _ZL24rocblas_symm_hemm_kernelILb0ELb1ELi32EPK19rocblas_complex_numIfES3_PS1_EvbiiT2_T3_lllS6_lllT4_llli
		.amdhsa_group_segment_fixed_size 16384
		.amdhsa_private_segment_fixed_size 0
		.amdhsa_kernarg_size 384
		.amdhsa_user_sgpr_count 6
		.amdhsa_user_sgpr_private_segment_buffer 1
		.amdhsa_user_sgpr_dispatch_ptr 0
		.amdhsa_user_sgpr_queue_ptr 0
		.amdhsa_user_sgpr_kernarg_segment_ptr 1
		.amdhsa_user_sgpr_dispatch_id 0
		.amdhsa_user_sgpr_flat_scratch_init 0
		.amdhsa_user_sgpr_private_segment_size 0
		.amdhsa_uses_dynamic_stack 0
		.amdhsa_system_sgpr_private_segment_wavefront_offset 0
		.amdhsa_system_sgpr_workgroup_id_x 1
		.amdhsa_system_sgpr_workgroup_id_y 1
		.amdhsa_system_sgpr_workgroup_id_z 1
		.amdhsa_system_sgpr_workgroup_info 0
		.amdhsa_system_vgpr_workitem_id 1
		.amdhsa_next_free_vgpr 37
		.amdhsa_next_free_sgpr 61
		.amdhsa_reserve_vcc 1
		.amdhsa_reserve_flat_scratch 0
		.amdhsa_float_round_mode_32 0
		.amdhsa_float_round_mode_16_64 0
		.amdhsa_float_denorm_mode_32 3
		.amdhsa_float_denorm_mode_16_64 3
		.amdhsa_dx10_clamp 1
		.amdhsa_ieee_mode 1
		.amdhsa_fp16_overflow 0
		.amdhsa_exception_fp_ieee_invalid_op 0
		.amdhsa_exception_fp_denorm_src 0
		.amdhsa_exception_fp_ieee_div_zero 0
		.amdhsa_exception_fp_ieee_overflow 0
		.amdhsa_exception_fp_ieee_underflow 0
		.amdhsa_exception_fp_ieee_inexact 0
		.amdhsa_exception_int_div_zero 0
	.end_amdhsa_kernel
	.section	.text._ZL24rocblas_symm_hemm_kernelILb0ELb1ELi32EPK19rocblas_complex_numIfES3_PS1_EvbiiT2_T3_lllS6_lllT4_llli,"axG",@progbits,_ZL24rocblas_symm_hemm_kernelILb0ELb1ELi32EPK19rocblas_complex_numIfES3_PS1_EvbiiT2_T3_lllS6_lllT4_llli,comdat
.Lfunc_end14:
	.size	_ZL24rocblas_symm_hemm_kernelILb0ELb1ELi32EPK19rocblas_complex_numIfES3_PS1_EvbiiT2_T3_lllS6_lllT4_llli, .Lfunc_end14-_ZL24rocblas_symm_hemm_kernelILb0ELb1ELi32EPK19rocblas_complex_numIfES3_PS1_EvbiiT2_T3_lllS6_lllT4_llli
                                        ; -- End function
	.set _ZL24rocblas_symm_hemm_kernelILb0ELb1ELi32EPK19rocblas_complex_numIfES3_PS1_EvbiiT2_T3_lllS6_lllT4_llli.num_vgpr, 37
	.set _ZL24rocblas_symm_hemm_kernelILb0ELb1ELi32EPK19rocblas_complex_numIfES3_PS1_EvbiiT2_T3_lllS6_lllT4_llli.num_agpr, 0
	.set _ZL24rocblas_symm_hemm_kernelILb0ELb1ELi32EPK19rocblas_complex_numIfES3_PS1_EvbiiT2_T3_lllS6_lllT4_llli.numbered_sgpr, 44
	.set _ZL24rocblas_symm_hemm_kernelILb0ELb1ELi32EPK19rocblas_complex_numIfES3_PS1_EvbiiT2_T3_lllS6_lllT4_llli.num_named_barrier, 0
	.set _ZL24rocblas_symm_hemm_kernelILb0ELb1ELi32EPK19rocblas_complex_numIfES3_PS1_EvbiiT2_T3_lllS6_lllT4_llli.private_seg_size, 0
	.set _ZL24rocblas_symm_hemm_kernelILb0ELb1ELi32EPK19rocblas_complex_numIfES3_PS1_EvbiiT2_T3_lllS6_lllT4_llli.uses_vcc, 1
	.set _ZL24rocblas_symm_hemm_kernelILb0ELb1ELi32EPK19rocblas_complex_numIfES3_PS1_EvbiiT2_T3_lllS6_lllT4_llli.uses_flat_scratch, 0
	.set _ZL24rocblas_symm_hemm_kernelILb0ELb1ELi32EPK19rocblas_complex_numIfES3_PS1_EvbiiT2_T3_lllS6_lllT4_llli.has_dyn_sized_stack, 0
	.set _ZL24rocblas_symm_hemm_kernelILb0ELb1ELi32EPK19rocblas_complex_numIfES3_PS1_EvbiiT2_T3_lllS6_lllT4_llli.has_recursion, 0
	.set _ZL24rocblas_symm_hemm_kernelILb0ELb1ELi32EPK19rocblas_complex_numIfES3_PS1_EvbiiT2_T3_lllS6_lllT4_llli.has_indirect_call, 0
	.section	.AMDGPU.csdata,"",@progbits
; Kernel info:
; codeLenInByte = 2044
; TotalNumSgprs: 48
; NumVgprs: 37
; ScratchSize: 0
; MemoryBound: 0
; FloatMode: 240
; IeeeMode: 1
; LDSByteSize: 16384 bytes/workgroup (compile time only)
; SGPRBlocks: 8
; VGPRBlocks: 9
; NumSGPRsForWavesPerEU: 65
; NumVGPRsForWavesPerEU: 37
; Occupancy: 6
; WaveLimiterHint : 0
; COMPUTE_PGM_RSRC2:SCRATCH_EN: 0
; COMPUTE_PGM_RSRC2:USER_SGPR: 6
; COMPUTE_PGM_RSRC2:TRAP_HANDLER: 0
; COMPUTE_PGM_RSRC2:TGID_X_EN: 1
; COMPUTE_PGM_RSRC2:TGID_Y_EN: 1
; COMPUTE_PGM_RSRC2:TGID_Z_EN: 1
; COMPUTE_PGM_RSRC2:TIDIG_COMP_CNT: 1
	.section	.text._ZL25rocblas_symm_scale_kernelILi128ELi8E19rocblas_complex_numIfEPS1_EviiT1_T2_llli,"axG",@progbits,_ZL25rocblas_symm_scale_kernelILi128ELi8E19rocblas_complex_numIfEPS1_EviiT1_T2_llli,comdat
	.globl	_ZL25rocblas_symm_scale_kernelILi128ELi8E19rocblas_complex_numIfEPS1_EviiT1_T2_llli ; -- Begin function _ZL25rocblas_symm_scale_kernelILi128ELi8E19rocblas_complex_numIfEPS1_EviiT1_T2_llli
	.p2align	8
	.type	_ZL25rocblas_symm_scale_kernelILi128ELi8E19rocblas_complex_numIfEPS1_EviiT1_T2_llli,@function
_ZL25rocblas_symm_scale_kernelILi128ELi8E19rocblas_complex_numIfEPS1_EviiT1_T2_llli: ; @_ZL25rocblas_symm_scale_kernelILi128ELi8E19rocblas_complex_numIfEPS1_EviiT1_T2_llli
; %bb.0:
	s_load_dwordx4 s[0:3], s[4:5], 0x0
	s_waitcnt lgkmcnt(0)
	v_cmp_eq_f32_e64 s[10:11], s2, 1.0
	v_cmp_eq_f32_e64 s[12:13], s3, 0
	s_and_b64 s[10:11], s[10:11], s[12:13]
	s_and_b64 vcc, exec, s[10:11]
	s_cbranch_vccnz .LBB15_6
; %bb.1:
	v_lshl_add_u32 v2, s6, 7, v0
	v_lshl_add_u32 v0, s7, 3, v1
	v_mov_b32_e32 v1, 0
	s_ashr_i32 s7, s1, 31
	s_mov_b32 s6, s1
	v_cmp_gt_i64_e32 vcc, s[6:7], v[0:1]
	v_cmp_gt_u32_e64 s[0:1], s0, v2
	s_and_b64 s[0:1], s[0:1], vcc
	s_and_saveexec_b64 s[10:11], s[0:1]
	s_cbranch_execz .LBB15_6
; %bb.2:
	s_load_dwordx8 s[12:19], s[4:5], 0x10
	s_load_dword s9, s[4:5], 0x3c
	s_or_b32 s0, s2, s3
	s_bitset0_b32 s0, 31
	s_cmp_lg_u32 s0, 0
	s_waitcnt lgkmcnt(0)
	v_mad_u64_u32 v[4:5], s[4:5], s16, v0, 0
	s_cselect_b64 s[0:1], -1, 0
	s_lshl_b32 s10, s9, 3
	v_mad_u64_u32 v[5:6], s[4:5], s17, v0, v[5:6]
	s_mul_i32 s9, s19, s8
	s_mul_hi_u32 s11, s18, s8
	s_add_i32 s5, s11, s9
	s_mul_i32 s4, s18, s8
	s_lshl_b64 s[4:5], s[4:5], 3
	s_lshl_b64 s[8:9], s[14:15], 3
	v_lshlrev_b64 v[4:5], 3, v[4:5]
	s_add_u32 s4, s8, s4
	v_mov_b32_e32 v3, v1
	s_addc_u32 s5, s9, s5
	v_mov_b32_e32 v6, s5
	v_add_co_u32_e32 v4, vcc, s4, v4
	v_lshlrev_b64 v[2:3], 3, v[2:3]
	v_addc_co_u32_e32 v5, vcc, v6, v5, vcc
	v_add_co_u32_e32 v2, vcc, v4, v2
	v_addc_co_u32_e32 v3, vcc, v5, v3, vcc
	v_mov_b32_e32 v4, s13
	v_add_co_u32_e32 v2, vcc, s12, v2
	s_mul_i32 s4, s17, s10
	s_mul_hi_u32 s5, s16, s10
	v_addc_co_u32_e32 v3, vcc, v4, v3, vcc
	s_add_i32 s5, s5, s4
	s_mul_i32 s4, s16, s10
	v_add_co_u32_e32 v2, vcc, 4, v2
	s_lshl_b64 s[4:5], s[4:5], 3
	v_cndmask_b32_e64 v4, 0, 1, s[0:1]
	v_addc_co_u32_e32 v3, vcc, 0, v3, vcc
	s_mov_b64 s[8:9], 0
	v_cmp_ne_u32_e64 s[0:1], 1, v4
	v_mov_b32_e32 v6, s5
	s_branch .LBB15_4
.LBB15_3:                               ;   in Loop: Header=BB15_4 Depth=1
	v_add_co_u32_e32 v0, vcc, s10, v0
	v_addc_co_u32_e32 v1, vcc, 0, v1, vcc
	v_cmp_le_i64_e32 vcc, s[6:7], v[0:1]
	global_store_dwordx2 v[2:3], v[4:5], off offset:-4
	s_or_b64 s[8:9], vcc, s[8:9]
	v_add_co_u32_e32 v2, vcc, s4, v2
	v_addc_co_u32_e32 v3, vcc, v3, v6, vcc
	s_andn2_b64 exec, exec, s[8:9]
	s_cbranch_execz .LBB15_6
.LBB15_4:                               ; =>This Inner Loop Header: Depth=1
	v_mov_b32_e32 v5, 0
	s_and_b64 vcc, exec, s[0:1]
	v_mov_b32_e32 v4, 0
	s_cbranch_vccnz .LBB15_3
; %bb.5:                                ;   in Loop: Header=BB15_4 Depth=1
	global_load_dwordx2 v[7:8], v[2:3], off offset:-4
	s_waitcnt vmcnt(0)
	v_mul_f32_e32 v4, s3, v8
	v_mul_f32_e32 v5, s2, v8
	v_fma_f32 v4, v7, s2, -v4
	v_fmac_f32_e32 v5, s3, v7
	s_branch .LBB15_3
.LBB15_6:
	s_endpgm
	.section	.rodata,"a",@progbits
	.p2align	6, 0x0
	.amdhsa_kernel _ZL25rocblas_symm_scale_kernelILi128ELi8E19rocblas_complex_numIfEPS1_EviiT1_T2_llli
		.amdhsa_group_segment_fixed_size 0
		.amdhsa_private_segment_fixed_size 0
		.amdhsa_kernarg_size 312
		.amdhsa_user_sgpr_count 6
		.amdhsa_user_sgpr_private_segment_buffer 1
		.amdhsa_user_sgpr_dispatch_ptr 0
		.amdhsa_user_sgpr_queue_ptr 0
		.amdhsa_user_sgpr_kernarg_segment_ptr 1
		.amdhsa_user_sgpr_dispatch_id 0
		.amdhsa_user_sgpr_flat_scratch_init 0
		.amdhsa_user_sgpr_private_segment_size 0
		.amdhsa_uses_dynamic_stack 0
		.amdhsa_system_sgpr_private_segment_wavefront_offset 0
		.amdhsa_system_sgpr_workgroup_id_x 1
		.amdhsa_system_sgpr_workgroup_id_y 1
		.amdhsa_system_sgpr_workgroup_id_z 1
		.amdhsa_system_sgpr_workgroup_info 0
		.amdhsa_system_vgpr_workitem_id 1
		.amdhsa_next_free_vgpr 9
		.amdhsa_next_free_sgpr 20
		.amdhsa_reserve_vcc 1
		.amdhsa_reserve_flat_scratch 0
		.amdhsa_float_round_mode_32 0
		.amdhsa_float_round_mode_16_64 0
		.amdhsa_float_denorm_mode_32 3
		.amdhsa_float_denorm_mode_16_64 3
		.amdhsa_dx10_clamp 1
		.amdhsa_ieee_mode 1
		.amdhsa_fp16_overflow 0
		.amdhsa_exception_fp_ieee_invalid_op 0
		.amdhsa_exception_fp_denorm_src 0
		.amdhsa_exception_fp_ieee_div_zero 0
		.amdhsa_exception_fp_ieee_overflow 0
		.amdhsa_exception_fp_ieee_underflow 0
		.amdhsa_exception_fp_ieee_inexact 0
		.amdhsa_exception_int_div_zero 0
	.end_amdhsa_kernel
	.section	.text._ZL25rocblas_symm_scale_kernelILi128ELi8E19rocblas_complex_numIfEPS1_EviiT1_T2_llli,"axG",@progbits,_ZL25rocblas_symm_scale_kernelILi128ELi8E19rocblas_complex_numIfEPS1_EviiT1_T2_llli,comdat
.Lfunc_end15:
	.size	_ZL25rocblas_symm_scale_kernelILi128ELi8E19rocblas_complex_numIfEPS1_EviiT1_T2_llli, .Lfunc_end15-_ZL25rocblas_symm_scale_kernelILi128ELi8E19rocblas_complex_numIfEPS1_EviiT1_T2_llli
                                        ; -- End function
	.set _ZL25rocblas_symm_scale_kernelILi128ELi8E19rocblas_complex_numIfEPS1_EviiT1_T2_llli.num_vgpr, 9
	.set _ZL25rocblas_symm_scale_kernelILi128ELi8E19rocblas_complex_numIfEPS1_EviiT1_T2_llli.num_agpr, 0
	.set _ZL25rocblas_symm_scale_kernelILi128ELi8E19rocblas_complex_numIfEPS1_EviiT1_T2_llli.numbered_sgpr, 20
	.set _ZL25rocblas_symm_scale_kernelILi128ELi8E19rocblas_complex_numIfEPS1_EviiT1_T2_llli.num_named_barrier, 0
	.set _ZL25rocblas_symm_scale_kernelILi128ELi8E19rocblas_complex_numIfEPS1_EviiT1_T2_llli.private_seg_size, 0
	.set _ZL25rocblas_symm_scale_kernelILi128ELi8E19rocblas_complex_numIfEPS1_EviiT1_T2_llli.uses_vcc, 1
	.set _ZL25rocblas_symm_scale_kernelILi128ELi8E19rocblas_complex_numIfEPS1_EviiT1_T2_llli.uses_flat_scratch, 0
	.set _ZL25rocblas_symm_scale_kernelILi128ELi8E19rocblas_complex_numIfEPS1_EviiT1_T2_llli.has_dyn_sized_stack, 0
	.set _ZL25rocblas_symm_scale_kernelILi128ELi8E19rocblas_complex_numIfEPS1_EviiT1_T2_llli.has_recursion, 0
	.set _ZL25rocblas_symm_scale_kernelILi128ELi8E19rocblas_complex_numIfEPS1_EviiT1_T2_llli.has_indirect_call, 0
	.section	.AMDGPU.csdata,"",@progbits
; Kernel info:
; codeLenInByte = 384
; TotalNumSgprs: 24
; NumVgprs: 9
; ScratchSize: 0
; MemoryBound: 0
; FloatMode: 240
; IeeeMode: 1
; LDSByteSize: 0 bytes/workgroup (compile time only)
; SGPRBlocks: 2
; VGPRBlocks: 2
; NumSGPRsForWavesPerEU: 24
; NumVGPRsForWavesPerEU: 9
; Occupancy: 10
; WaveLimiterHint : 0
; COMPUTE_PGM_RSRC2:SCRATCH_EN: 0
; COMPUTE_PGM_RSRC2:USER_SGPR: 6
; COMPUTE_PGM_RSRC2:TRAP_HANDLER: 0
; COMPUTE_PGM_RSRC2:TGID_X_EN: 1
; COMPUTE_PGM_RSRC2:TGID_Y_EN: 1
; COMPUTE_PGM_RSRC2:TGID_Z_EN: 1
; COMPUTE_PGM_RSRC2:TIDIG_COMP_CNT: 1
	.section	.text._ZL24rocblas_symm_hemm_kernelILb0ELb0ELi32E19rocblas_complex_numIfEPKS1_PS1_EvbiiT2_T3_lllS6_lllT4_llli,"axG",@progbits,_ZL24rocblas_symm_hemm_kernelILb0ELb0ELi32E19rocblas_complex_numIfEPKS1_PS1_EvbiiT2_T3_lllS6_lllT4_llli,comdat
	.globl	_ZL24rocblas_symm_hemm_kernelILb0ELb0ELi32E19rocblas_complex_numIfEPKS1_PS1_EvbiiT2_T3_lllS6_lllT4_llli ; -- Begin function _ZL24rocblas_symm_hemm_kernelILb0ELb0ELi32E19rocblas_complex_numIfEPKS1_PS1_EvbiiT2_T3_lllS6_lllT4_llli
	.p2align	8
	.type	_ZL24rocblas_symm_hemm_kernelILb0ELb0ELi32E19rocblas_complex_numIfEPKS1_PS1_EvbiiT2_T3_lllS6_lllT4_llli,@function
_ZL24rocblas_symm_hemm_kernelILb0ELb0ELi32E19rocblas_complex_numIfEPKS1_PS1_EvbiiT2_T3_lllS6_lllT4_llli: ; @_ZL24rocblas_symm_hemm_kernelILb0ELb0ELi32E19rocblas_complex_numIfEPKS1_PS1_EvbiiT2_T3_lllS6_lllT4_llli
; %bb.0:
	s_load_dwordx4 s[28:31], s[4:5], 0x0
	s_load_dword s33, s[4:5], 0x10
	s_waitcnt lgkmcnt(0)
	v_cmp_eq_f32_e64 s[0:1], s31, 0
	v_cmp_eq_f32_e64 s[2:3], s33, 0
	s_and_b64 s[0:1], s[0:1], s[2:3]
	s_and_b64 vcc, exec, s[0:1]
	s_cbranch_vccnz .LBB16_13
; %bb.1:
	s_add_i32 s0, s30, -1
	s_ashr_i32 s1, s0, 31
	s_lshr_b32 s1, s1, 27
	s_add_i32 s0, s0, s1
	s_ashr_i32 s34, s0, 5
	s_cmp_gt_i32 s7, s34
	s_cbranch_scc1 .LBB16_13
; %bb.2:
	s_load_dwordx16 s[12:27], s[4:5], 0x18
	s_load_dwordx8 s[36:43], s[4:5], 0x58
	v_lshl_add_u32 v14, s6, 5, v0
	v_lshlrev_b32_e32 v17, 8, v0
	v_lshlrev_b32_e32 v2, 3, v1
	s_waitcnt lgkmcnt(0)
	s_mul_i32 s1, s19, s8
	s_mul_hi_u32 s2, s18, s8
	s_mul_i32 s0, s18, s8
	s_add_i32 s1, s2, s1
	s_lshl_b64 s[0:1], s[0:1], 3
	s_add_u32 s2, s12, s0
	s_addc_u32 s9, s13, s1
	s_lshl_b64 s[0:1], s[14:15], 3
	s_mul_i32 s3, s27, s8
	s_add_u32 s14, s2, s0
	s_mul_hi_u32 s0, s26, s8
	s_addc_u32 s15, s9, s1
	s_add_i32 s1, s0, s3
	s_mul_i32 s0, s26, s8
	s_lshl_b64 s[0:1], s[0:1], 3
	s_add_u32 s2, s20, s0
	s_addc_u32 s3, s21, s1
	s_lshl_b64 s[0:1], s[22:23], 3
	s_add_u32 s18, s2, s0
	s_addc_u32 s19, s3, s1
	s_bitcmp1_b32 s28, 0
	s_mul_i32 s2, s43, s8
	s_mul_hi_u32 s3, s42, s8
	s_cselect_b64 s[0:1], -1, 0
	s_add_i32 s3, s3, s2
	s_mul_i32 s2, s42, s8
	s_lshl_b64 s[2:3], s[2:3], 3
	s_add_u32 s8, s36, s2
	s_addc_u32 s9, s37, s3
	s_lshl_b64 s[2:3], s[38:39], 3
	s_add_u32 s8, s8, s2
	s_addc_u32 s9, s9, s3
	v_ashrrev_i32_e32 v15, 31, v14
	s_load_dword s6, s[4:5], 0x84
	s_cmp_gt_i32 s29, 0
	v_add_u32_e32 v18, v17, v2
	v_or_b32_e32 v19, 0x2000, v2
	v_lshlrev_b64 v[2:3], 3, v[14:15]
	s_cselect_b64 s[4:5], -1, 0
	v_mov_b32_e32 v4, s9
	v_add_co_u32_e32 v21, vcc, s8, v2
	v_cndmask_b32_e64 v2, 0, 1, s[4:5]
	v_add_u32_e32 v20, v19, v17
	v_cmp_gt_i32_e64 s[2:3], s29, v14
	v_addc_co_u32_e32 v22, vcc, v4, v3, vcc
	v_cmp_ne_u32_e64 s[4:5], 1, v2
	v_add_u32_e32 v23, 0x800, v19
	v_add_u32_e32 v24, 0x1000, v19
	;; [unrolled: 1-line block ×3, first 2 shown]
	s_branch .LBB16_4
.LBB16_3:                               ;   in Loop: Header=BB16_4 Depth=1
	s_waitcnt lgkmcnt(0)
	s_add_i32 s7, s7, s6
	s_cmp_gt_i32 s7, s34
	s_cbranch_scc1 .LBB16_13
.LBB16_4:                               ; =>This Loop Header: Depth=1
                                        ;     Child Loop BB16_7 Depth 2
	s_and_b64 vcc, exec, s[4:5]
	s_cbranch_vccnz .LBB16_3
; %bb.5:                                ;   in Loop: Header=BB16_4 Depth=1
	v_lshl_add_u32 v4, s7, 5, v1
	v_ashrrev_i32_e32 v5, 31, v4
	v_mul_lo_u32 v6, s24, v5
	v_mul_lo_u32 v7, s25, v4
	v_mad_u64_u32 v[2:3], s[8:9], s24, v4, 0
	v_cmp_gt_i32_e32 vcc, s30, v4
	v_mul_lo_u32 v8, s41, v4
	v_add3_u32 v3, v3, v6, v7
	v_mul_lo_u32 v7, s40, v5
	v_mad_u64_u32 v[4:5], s[8:9], s40, v4, 0
	v_lshlrev_b64 v[2:3], 3, v[2:3]
	v_mov_b32_e32 v6, s19
	v_add_co_u32_e64 v26, s[8:9], s18, v2
	v_add3_u32 v5, v5, v7, v8
	v_addc_co_u32_e64 v27, s[8:9], v6, v3, s[8:9]
	v_lshlrev_b64 v[2:3], 3, v[4:5]
	s_and_b64 s[10:11], s[2:3], vcc
	v_add_co_u32_e64 v15, s[8:9], v21, v2
	v_addc_co_u32_e64 v16, s[8:9], v22, v3, s[8:9]
	s_mov_b32 s20, 0
	s_branch .LBB16_7
.LBB16_6:                               ;   in Loop: Header=BB16_7 Depth=2
	s_or_b64 exec, exec, s[8:9]
	s_add_i32 s20, s20, 32
	s_cmp_ge_i32 s20, s29
	s_waitcnt vmcnt(0)
	s_barrier
	s_cbranch_scc1 .LBB16_3
.LBB16_7:                               ;   Parent Loop BB16_4 Depth=1
                                        ; =>  This Inner Loop Header: Depth=2
	v_add_u32_e32 v2, s20, v1
	v_cndmask_b32_e64 v3, v2, v14, s[0:1]
	v_cndmask_b32_e64 v4, v14, v2, s[0:1]
	v_cmp_gt_i32_e64 s[8:9], v3, v4
	v_cndmask_b32_e64 v3, v14, v2, s[8:9]
	v_cndmask_b32_e64 v6, v2, v14, s[8:9]
	v_max_i32_e32 v2, v3, v6
	v_cmp_gt_i32_e64 s[8:9], s29, v2
	v_mov_b32_e32 v2, 0
	v_mov_b32_e32 v4, 0
	;; [unrolled: 1-line block ×3, first 2 shown]
	s_and_saveexec_b64 s[12:13], s[8:9]
	s_cbranch_execz .LBB16_9
; %bb.8:                                ;   in Loop: Header=BB16_7 Depth=2
	v_ashrrev_i32_e32 v4, 31, v6
	v_mul_lo_u32 v7, s17, v6
	v_mad_u64_u32 v[5:6], s[8:9], s16, v6, 0
	v_mul_lo_u32 v4, s16, v4
	v_add3_u32 v6, v6, v4, v7
	v_lshlrev_b64 v[5:6], 3, v[5:6]
	v_ashrrev_i32_e32 v4, 31, v3
	v_mov_b32_e32 v7, s15
	v_add_co_u32_e64 v5, s[8:9], s14, v5
	v_lshlrev_b64 v[3:4], 3, v[3:4]
	v_addc_co_u32_e64 v6, s[8:9], v7, v6, s[8:9]
	v_add_co_u32_e64 v3, s[8:9], v5, v3
	v_addc_co_u32_e64 v4, s[8:9], v6, v4, s[8:9]
	global_load_dwordx2 v[4:5], v[3:4], off
.LBB16_9:                               ;   in Loop: Header=BB16_7 Depth=2
	s_or_b64 exec, exec, s[12:13]
	s_waitcnt vmcnt(0)
	ds_write_b64 v18, v[4:5]
	v_add_u32_e32 v4, s20, v0
	v_cmp_gt_i32_e64 s[8:9], s29, v4
	s_and_b64 s[8:9], s[8:9], vcc
	v_mov_b32_e32 v3, 0
	s_and_saveexec_b64 s[12:13], s[8:9]
	s_cbranch_execz .LBB16_11
; %bb.10:                               ;   in Loop: Header=BB16_7 Depth=2
	v_ashrrev_i32_e32 v5, 31, v4
	v_lshlrev_b64 v[2:3], 3, v[4:5]
	v_add_co_u32_e64 v2, s[8:9], v26, v2
	v_addc_co_u32_e64 v3, s[8:9], v27, v3, s[8:9]
	global_load_dwordx2 v[2:3], v[2:3], off
.LBB16_11:                              ;   in Loop: Header=BB16_7 Depth=2
	s_or_b64 exec, exec, s[12:13]
	s_waitcnt vmcnt(0)
	ds_write_b64 v20, v[2:3]
	s_waitcnt lgkmcnt(0)
	s_barrier
	s_and_saveexec_b64 s[8:9], s[10:11]
	s_cbranch_execz .LBB16_6
; %bb.12:                               ;   in Loop: Header=BB16_7 Depth=2
	ds_read2_b64 v[2:5], v19 offset1:32
	ds_read_b128 v[6:9], v17
	ds_read_b128 v[10:13], v17 offset:16
	s_waitcnt lgkmcnt(1)
	v_mul_f32_e32 v28, v3, v7
	v_fma_f32 v33, v2, v6, -v28
	ds_read2_b64 v[28:31], v19 offset0:64 offset1:96
	v_mul_f32_e32 v32, v2, v7
	v_mul_f32_e32 v2, v5, v9
	v_fma_f32 v34, v4, v8, -v2
	v_fmac_f32_e32 v32, v3, v6
	s_waitcnt lgkmcnt(0)
	v_mul_f32_e32 v2, v29, v11
	v_mul_f32_e32 v35, v4, v9
	v_fma_f32 v36, v28, v10, -v2
	v_mul_f32_e32 v28, v28, v11
	v_mul_f32_e32 v2, v31, v13
	v_fmac_f32_e32 v35, v5, v8
	v_fmac_f32_e32 v28, v29, v10
	v_fma_f32 v29, v30, v12, -v2
	v_mul_f32_e32 v30, v30, v13
	v_add_f32_e32 v10, 0, v33
	v_add_f32_e32 v11, 0, v32
	v_fmac_f32_e32 v30, v31, v12
	ds_read_b128 v[2:5], v17 offset:32
	ds_read_b128 v[6:9], v17 offset:48
	v_add_f32_e32 v31, v10, v34
	v_add_f32_e32 v32, v11, v35
	ds_read2_b64 v[10:13], v19 offset0:128 offset1:160
	v_add_f32_e32 v28, v32, v28
	v_add_f32_e32 v31, v31, v36
	;; [unrolled: 1-line block ×4, first 2 shown]
	s_waitcnt lgkmcnt(0)
	v_mul_f32_e32 v30, v11, v3
	v_mul_f32_e32 v3, v10, v3
	v_fma_f32 v30, v10, v2, -v30
	v_fmac_f32_e32 v3, v11, v2
	v_add_f32_e32 v2, v29, v30
	v_add_f32_e32 v3, v28, v3
	ds_read2_b64 v[28:31], v19 offset0:192 offset1:224
	v_mul_f32_e32 v10, v13, v5
	v_mul_f32_e32 v5, v12, v5
	v_fma_f32 v10, v12, v4, -v10
	v_fmac_f32_e32 v5, v13, v4
	s_waitcnt lgkmcnt(0)
	v_mul_f32_e32 v4, v29, v7
	v_add_f32_e32 v2, v2, v10
	v_add_f32_e32 v3, v3, v5
	v_fma_f32 v4, v28, v6, -v4
	v_mul_f32_e32 v5, v28, v7
	v_fmac_f32_e32 v5, v29, v6
	v_add_f32_e32 v6, v2, v4
	v_mul_f32_e32 v2, v31, v9
	v_add_f32_e32 v7, v3, v5
	v_fma_f32 v13, v30, v8, -v2
	v_mul_f32_e32 v28, v30, v9
	ds_read_b128 v[2:5], v17 offset:64
	ds_read2_b64 v[9:12], v23 offset1:32
	v_fmac_f32_e32 v28, v31, v8
	v_add_f32_e32 v6, v6, v13
	v_add_f32_e32 v7, v7, v28
	ds_read_b128 v[28:31], v17 offset:80
	s_waitcnt lgkmcnt(1)
	v_mul_f32_e32 v8, v10, v3
	v_fma_f32 v8, v9, v2, -v8
	v_mul_f32_e32 v3, v9, v3
	v_fmac_f32_e32 v3, v10, v2
	v_add_f32_e32 v2, v6, v8
	v_mul_f32_e32 v6, v12, v5
	v_add_f32_e32 v3, v7, v3
	v_fma_f32 v10, v11, v4, -v6
	ds_read2_b64 v[6:9], v23 offset0:64 offset1:96
	v_mul_f32_e32 v5, v11, v5
	v_fmac_f32_e32 v5, v12, v4
	v_add_f32_e32 v2, v2, v10
	v_add_f32_e32 v3, v3, v5
	s_waitcnt lgkmcnt(0)
	v_mul_f32_e32 v4, v7, v29
	v_fma_f32 v4, v6, v28, -v4
	v_mul_f32_e32 v5, v6, v29
	v_fmac_f32_e32 v5, v7, v28
	v_add_f32_e32 v6, v2, v4
	v_mul_f32_e32 v2, v9, v31
	v_add_f32_e32 v7, v3, v5
	v_fma_f32 v28, v8, v30, -v2
	ds_read_b128 v[2:5], v17 offset:96
	ds_read2_b64 v[10:13], v23 offset0:128 offset1:160
	v_mul_f32_e32 v8, v8, v31
	v_fmac_f32_e32 v8, v9, v30
	v_add_f32_e32 v28, v6, v28
	v_add_f32_e32 v29, v7, v8
	s_waitcnt lgkmcnt(0)
	v_mul_f32_e32 v30, v11, v3
	v_mul_f32_e32 v3, v10, v3
	v_fma_f32 v30, v10, v2, -v30
	v_fmac_f32_e32 v3, v11, v2
	ds_read_b128 v[6:9], v17 offset:112
	v_add_f32_e32 v2, v28, v30
	v_add_f32_e32 v3, v29, v3
	ds_read2_b64 v[28:31], v23 offset0:192 offset1:224
	v_mul_f32_e32 v10, v13, v5
	v_mul_f32_e32 v5, v12, v5
	v_fma_f32 v10, v12, v4, -v10
	v_fmac_f32_e32 v5, v13, v4
	s_waitcnt lgkmcnt(0)
	v_mul_f32_e32 v4, v29, v7
	v_add_f32_e32 v2, v2, v10
	v_add_f32_e32 v3, v3, v5
	v_fma_f32 v4, v28, v6, -v4
	v_mul_f32_e32 v5, v28, v7
	v_fmac_f32_e32 v5, v29, v6
	v_add_f32_e32 v6, v2, v4
	v_mul_f32_e32 v2, v31, v9
	v_add_f32_e32 v7, v3, v5
	v_fma_f32 v13, v30, v8, -v2
	v_mul_f32_e32 v28, v30, v9
	ds_read_b128 v[2:5], v17 offset:128
	ds_read2_b64 v[9:12], v24 offset1:32
	v_fmac_f32_e32 v28, v31, v8
	v_add_f32_e32 v6, v6, v13
	v_add_f32_e32 v7, v7, v28
	ds_read_b128 v[28:31], v17 offset:144
	s_waitcnt lgkmcnt(1)
	v_mul_f32_e32 v8, v10, v3
	v_fma_f32 v8, v9, v2, -v8
	v_mul_f32_e32 v3, v9, v3
	ds_read2_b64 v[32:35], v24 offset0:64 offset1:96
	v_fmac_f32_e32 v3, v10, v2
	v_add_f32_e32 v2, v6, v8
	v_mul_f32_e32 v6, v12, v5
	v_fma_f32 v6, v11, v4, -v6
	v_mul_f32_e32 v5, v11, v5
	v_add_f32_e32 v3, v7, v3
	v_fmac_f32_e32 v5, v12, v4
	v_add_f32_e32 v2, v2, v6
	ds_read_b128 v[6:9], v17 offset:160
	ds_read2_b64 v[10:13], v24 offset0:128 offset1:160
	v_add_f32_e32 v3, v3, v5
	s_waitcnt lgkmcnt(2)
	v_mul_f32_e32 v4, v33, v29
	v_mul_f32_e32 v5, v32, v29
	v_fma_f32 v4, v32, v28, -v4
	v_fmac_f32_e32 v5, v33, v28
	v_add_f32_e32 v2, v2, v4
	v_add_f32_e32 v3, v3, v5
	v_mul_f32_e32 v4, v35, v31
	v_mul_f32_e32 v5, v34, v31
	v_fma_f32 v4, v34, v30, -v4
	v_fmac_f32_e32 v5, v35, v30
	s_waitcnt lgkmcnt(0)
	v_mul_f32_e32 v30, v11, v7
	v_mul_f32_e32 v31, v10, v7
	v_fma_f32 v30, v10, v6, -v30
	v_fmac_f32_e32 v31, v11, v6
	v_mul_f32_e32 v6, v13, v9
	v_fma_f32 v32, v12, v8, -v6
	global_load_dwordx2 v[6:7], v[15:16], off
	v_mul_f32_e32 v12, v12, v9
	v_add_f32_e32 v28, v2, v4
	v_add_f32_e32 v29, v3, v5
	ds_read_b128 v[2:5], v17 offset:176
	v_fmac_f32_e32 v12, v13, v8
	ds_read2_b64 v[8:11], v24 offset0:192 offset1:224
	v_add_f32_e32 v13, v28, v30
	v_add_f32_e32 v28, v29, v31
	v_add_f32_e32 v12, v28, v12
	v_add_f32_e32 v13, v13, v32
	s_waitcnt lgkmcnt(0)
	v_mul_f32_e32 v28, v9, v3
	v_mul_f32_e32 v29, v8, v3
	v_fma_f32 v28, v8, v2, -v28
	v_fmac_f32_e32 v29, v9, v2
	v_mul_f32_e32 v2, v11, v5
	v_mul_f32_e32 v30, v10, v5
	v_add_f32_e32 v13, v13, v28
	v_fma_f32 v28, v10, v4, -v2
	v_fmac_f32_e32 v30, v11, v4
	ds_read_b128 v[2:5], v17 offset:192
	ds_read2_b64 v[8:11], v25 offset1:32
	v_add_f32_e32 v12, v12, v29
	v_add_f32_e32 v13, v13, v28
	;; [unrolled: 1-line block ×3, first 2 shown]
	ds_read_b128 v[28:31], v17 offset:208
	s_waitcnt lgkmcnt(1)
	v_mul_f32_e32 v32, v9, v3
	v_fma_f32 v32, v8, v2, -v32
	v_mul_f32_e32 v8, v8, v3
	v_fmac_f32_e32 v8, v9, v2
	v_mul_f32_e32 v2, v11, v5
	v_fma_f32 v9, v10, v4, -v2
	v_mul_f32_e32 v10, v10, v5
	v_fmac_f32_e32 v10, v11, v4
	ds_read2_b64 v[2:5], v25 offset0:64 offset1:96
	v_add_f32_e32 v8, v12, v8
	v_add_f32_e32 v11, v13, v32
	;; [unrolled: 1-line block ×4, first 2 shown]
	s_waitcnt lgkmcnt(0)
	v_mul_f32_e32 v8, v3, v29
	v_fma_f32 v8, v2, v28, -v8
	v_mul_f32_e32 v13, v2, v29
	v_mul_f32_e32 v2, v5, v31
	;; [unrolled: 1-line block ×3, first 2 shown]
	v_fmac_f32_e32 v13, v3, v28
	v_add_f32_e32 v28, v9, v8
	v_fma_f32 v29, v4, v30, -v2
	v_fmac_f32_e32 v31, v5, v30
	ds_read_b128 v[2:5], v17 offset:224
	ds_read2_b64 v[8:11], v25 offset0:128 offset1:160
	v_add_f32_e32 v12, v12, v13
	v_add_f32_e32 v13, v28, v29
	;; [unrolled: 1-line block ×3, first 2 shown]
	ds_read_b128 v[28:31], v17 offset:240
	s_waitcnt lgkmcnt(1)
	v_mul_f32_e32 v32, v9, v3
	v_fma_f32 v32, v8, v2, -v32
	v_mul_f32_e32 v8, v8, v3
	v_fmac_f32_e32 v8, v9, v2
	v_mul_f32_e32 v2, v11, v5
	v_fma_f32 v9, v10, v4, -v2
	v_mul_f32_e32 v10, v10, v5
	v_fmac_f32_e32 v10, v11, v4
	ds_read2_b64 v[2:5], v25 offset0:192 offset1:224
	v_add_f32_e32 v8, v12, v8
	v_add_f32_e32 v8, v8, v10
	;; [unrolled: 1-line block ×4, first 2 shown]
	s_waitcnt lgkmcnt(0)
	v_mul_f32_e32 v10, v3, v29
	v_fma_f32 v10, v2, v28, -v10
	v_mul_f32_e32 v2, v2, v29
	v_fmac_f32_e32 v2, v3, v28
	v_add_f32_e32 v2, v8, v2
	v_mul_f32_e32 v8, v5, v31
	v_fma_f32 v8, v4, v30, -v8
	v_mul_f32_e32 v4, v4, v31
	v_fmac_f32_e32 v4, v5, v30
	v_add_f32_e32 v3, v9, v10
	v_add_f32_e32 v2, v2, v4
	;; [unrolled: 1-line block ×3, first 2 shown]
	v_mul_f32_e32 v4, s33, v2
	v_fma_f32 v4, s31, v3, -v4
	v_mul_f32_e32 v3, s33, v3
	v_fmac_f32_e32 v3, s31, v2
	s_waitcnt vmcnt(0)
	v_add_f32_e32 v2, v6, v4
	v_add_f32_e32 v3, v7, v3
	global_store_dwordx2 v[15:16], v[2:3], off
	s_branch .LBB16_6
.LBB16_13:
	s_endpgm
	.section	.rodata,"a",@progbits
	.p2align	6, 0x0
	.amdhsa_kernel _ZL24rocblas_symm_hemm_kernelILb0ELb0ELi32E19rocblas_complex_numIfEPKS1_PS1_EvbiiT2_T3_lllS6_lllT4_llli
		.amdhsa_group_segment_fixed_size 16384
		.amdhsa_private_segment_fixed_size 0
		.amdhsa_kernarg_size 384
		.amdhsa_user_sgpr_count 6
		.amdhsa_user_sgpr_private_segment_buffer 1
		.amdhsa_user_sgpr_dispatch_ptr 0
		.amdhsa_user_sgpr_queue_ptr 0
		.amdhsa_user_sgpr_kernarg_segment_ptr 1
		.amdhsa_user_sgpr_dispatch_id 0
		.amdhsa_user_sgpr_flat_scratch_init 0
		.amdhsa_user_sgpr_private_segment_size 0
		.amdhsa_uses_dynamic_stack 0
		.amdhsa_system_sgpr_private_segment_wavefront_offset 0
		.amdhsa_system_sgpr_workgroup_id_x 1
		.amdhsa_system_sgpr_workgroup_id_y 1
		.amdhsa_system_sgpr_workgroup_id_z 1
		.amdhsa_system_sgpr_workgroup_info 0
		.amdhsa_system_vgpr_workitem_id 1
		.amdhsa_next_free_vgpr 37
		.amdhsa_next_free_sgpr 61
		.amdhsa_reserve_vcc 1
		.amdhsa_reserve_flat_scratch 0
		.amdhsa_float_round_mode_32 0
		.amdhsa_float_round_mode_16_64 0
		.amdhsa_float_denorm_mode_32 3
		.amdhsa_float_denorm_mode_16_64 3
		.amdhsa_dx10_clamp 1
		.amdhsa_ieee_mode 1
		.amdhsa_fp16_overflow 0
		.amdhsa_exception_fp_ieee_invalid_op 0
		.amdhsa_exception_fp_denorm_src 0
		.amdhsa_exception_fp_ieee_div_zero 0
		.amdhsa_exception_fp_ieee_overflow 0
		.amdhsa_exception_fp_ieee_underflow 0
		.amdhsa_exception_fp_ieee_inexact 0
		.amdhsa_exception_int_div_zero 0
	.end_amdhsa_kernel
	.section	.text._ZL24rocblas_symm_hemm_kernelILb0ELb0ELi32E19rocblas_complex_numIfEPKS1_PS1_EvbiiT2_T3_lllS6_lllT4_llli,"axG",@progbits,_ZL24rocblas_symm_hemm_kernelILb0ELb0ELi32E19rocblas_complex_numIfEPKS1_PS1_EvbiiT2_T3_lllS6_lllT4_llli,comdat
.Lfunc_end16:
	.size	_ZL24rocblas_symm_hemm_kernelILb0ELb0ELi32E19rocblas_complex_numIfEPKS1_PS1_EvbiiT2_T3_lllS6_lllT4_llli, .Lfunc_end16-_ZL24rocblas_symm_hemm_kernelILb0ELb0ELi32E19rocblas_complex_numIfEPKS1_PS1_EvbiiT2_T3_lllS6_lllT4_llli
                                        ; -- End function
	.set _ZL24rocblas_symm_hemm_kernelILb0ELb0ELi32E19rocblas_complex_numIfEPKS1_PS1_EvbiiT2_T3_lllS6_lllT4_llli.num_vgpr, 37
	.set _ZL24rocblas_symm_hemm_kernelILb0ELb0ELi32E19rocblas_complex_numIfEPKS1_PS1_EvbiiT2_T3_lllS6_lllT4_llli.num_agpr, 0
	.set _ZL24rocblas_symm_hemm_kernelILb0ELb0ELi32E19rocblas_complex_numIfEPKS1_PS1_EvbiiT2_T3_lllS6_lllT4_llli.numbered_sgpr, 44
	.set _ZL24rocblas_symm_hemm_kernelILb0ELb0ELi32E19rocblas_complex_numIfEPKS1_PS1_EvbiiT2_T3_lllS6_lllT4_llli.num_named_barrier, 0
	.set _ZL24rocblas_symm_hemm_kernelILb0ELb0ELi32E19rocblas_complex_numIfEPKS1_PS1_EvbiiT2_T3_lllS6_lllT4_llli.private_seg_size, 0
	.set _ZL24rocblas_symm_hemm_kernelILb0ELb0ELi32E19rocblas_complex_numIfEPKS1_PS1_EvbiiT2_T3_lllS6_lllT4_llli.uses_vcc, 1
	.set _ZL24rocblas_symm_hemm_kernelILb0ELb0ELi32E19rocblas_complex_numIfEPKS1_PS1_EvbiiT2_T3_lllS6_lllT4_llli.uses_flat_scratch, 0
	.set _ZL24rocblas_symm_hemm_kernelILb0ELb0ELi32E19rocblas_complex_numIfEPKS1_PS1_EvbiiT2_T3_lllS6_lllT4_llli.has_dyn_sized_stack, 0
	.set _ZL24rocblas_symm_hemm_kernelILb0ELb0ELi32E19rocblas_complex_numIfEPKS1_PS1_EvbiiT2_T3_lllS6_lllT4_llli.has_recursion, 0
	.set _ZL24rocblas_symm_hemm_kernelILb0ELb0ELi32E19rocblas_complex_numIfEPKS1_PS1_EvbiiT2_T3_lllS6_lllT4_llli.has_indirect_call, 0
	.section	.AMDGPU.csdata,"",@progbits
; Kernel info:
; codeLenInByte = 2100
; TotalNumSgprs: 48
; NumVgprs: 37
; ScratchSize: 0
; MemoryBound: 0
; FloatMode: 240
; IeeeMode: 1
; LDSByteSize: 16384 bytes/workgroup (compile time only)
; SGPRBlocks: 8
; VGPRBlocks: 9
; NumSGPRsForWavesPerEU: 65
; NumVGPRsForWavesPerEU: 37
; Occupancy: 6
; WaveLimiterHint : 0
; COMPUTE_PGM_RSRC2:SCRATCH_EN: 0
; COMPUTE_PGM_RSRC2:USER_SGPR: 6
; COMPUTE_PGM_RSRC2:TRAP_HANDLER: 0
; COMPUTE_PGM_RSRC2:TGID_X_EN: 1
; COMPUTE_PGM_RSRC2:TGID_Y_EN: 1
; COMPUTE_PGM_RSRC2:TGID_Z_EN: 1
; COMPUTE_PGM_RSRC2:TIDIG_COMP_CNT: 1
	.section	.text._ZL24rocblas_symm_hemm_kernelILb0ELb1ELi32E19rocblas_complex_numIfEPKS1_PS1_EvbiiT2_T3_lllS6_lllT4_llli,"axG",@progbits,_ZL24rocblas_symm_hemm_kernelILb0ELb1ELi32E19rocblas_complex_numIfEPKS1_PS1_EvbiiT2_T3_lllS6_lllT4_llli,comdat
	.globl	_ZL24rocblas_symm_hemm_kernelILb0ELb1ELi32E19rocblas_complex_numIfEPKS1_PS1_EvbiiT2_T3_lllS6_lllT4_llli ; -- Begin function _ZL24rocblas_symm_hemm_kernelILb0ELb1ELi32E19rocblas_complex_numIfEPKS1_PS1_EvbiiT2_T3_lllS6_lllT4_llli
	.p2align	8
	.type	_ZL24rocblas_symm_hemm_kernelILb0ELb1ELi32E19rocblas_complex_numIfEPKS1_PS1_EvbiiT2_T3_lllS6_lllT4_llli,@function
_ZL24rocblas_symm_hemm_kernelILb0ELb1ELi32E19rocblas_complex_numIfEPKS1_PS1_EvbiiT2_T3_lllS6_lllT4_llli: ; @_ZL24rocblas_symm_hemm_kernelILb0ELb1ELi32E19rocblas_complex_numIfEPKS1_PS1_EvbiiT2_T3_lllS6_lllT4_llli
; %bb.0:
	s_load_dwordx4 s[28:31], s[4:5], 0x0
	s_load_dword s33, s[4:5], 0x10
	s_waitcnt lgkmcnt(0)
	v_cmp_eq_f32_e64 s[0:1], s31, 0
	v_cmp_eq_f32_e64 s[2:3], s33, 0
	s_and_b64 s[0:1], s[0:1], s[2:3]
	s_and_b64 vcc, exec, s[0:1]
	s_cbranch_vccnz .LBB17_13
; %bb.1:
	s_add_i32 s0, s30, -1
	s_ashr_i32 s1, s0, 31
	s_lshr_b32 s1, s1, 27
	s_add_i32 s0, s0, s1
	s_ashr_i32 s34, s0, 5
	s_cmp_gt_i32 s7, s34
	s_cbranch_scc1 .LBB17_13
; %bb.2:
	s_load_dwordx16 s[12:27], s[4:5], 0x18
	s_load_dwordx8 s[36:43], s[4:5], 0x58
	v_lshl_add_u32 v2, s6, 5, v0
	v_ashrrev_i32_e32 v3, 31, v2
	s_load_dword s6, s[4:5], 0x84
	s_waitcnt lgkmcnt(0)
	s_mul_i32 s1, s19, s8
	s_mul_hi_u32 s2, s18, s8
	s_mul_i32 s0, s18, s8
	s_add_i32 s1, s2, s1
	s_lshl_b64 s[0:1], s[0:1], 3
	s_add_u32 s2, s12, s0
	s_addc_u32 s3, s13, s1
	s_lshl_b64 s[0:1], s[14:15], 3
	s_add_u32 s12, s2, s0
	s_addc_u32 s13, s3, s1
	s_bitcmp1_b32 s28, 0
	s_mul_i32 s2, s43, s8
	s_mul_hi_u32 s3, s42, s8
	s_cselect_b64 s[0:1], -1, 0
	s_add_i32 s3, s3, s2
	s_mul_i32 s2, s42, s8
	s_lshl_b64 s[2:3], s[2:3], 3
	s_add_u32 s9, s36, s2
	s_addc_u32 s10, s37, s3
	s_lshl_b64 s[2:3], s[38:39], 3
	s_add_u32 s9, s9, s2
	s_addc_u32 s10, s10, s3
	s_mul_i32 s2, s27, s8
	s_mul_hi_u32 s3, s26, s8
	s_add_i32 s3, s3, s2
	s_mul_i32 s2, s26, s8
	s_lshl_b64 s[2:3], s[2:3], 3
	s_add_u32 s8, s20, s2
	s_addc_u32 s11, s21, s3
	s_lshl_b64 s[2:3], s[22:23], 3
	s_add_u32 s8, s8, s2
	s_addc_u32 s11, s11, s3
	v_cmp_gt_i32_e64 s[2:3], s29, v2
	v_lshlrev_b64 v[2:3], 3, v[2:3]
	s_cmp_gt_i32 s30, 0
	v_mov_b32_e32 v4, s11
	v_add_co_u32_e32 v16, vcc, s8, v2
	v_addc_co_u32_e32 v17, vcc, v4, v3, vcc
	v_lshlrev_b32_e32 v18, 8, v0
	v_lshlrev_b32_e32 v4, 3, v1
	s_cselect_b64 s[4:5], -1, 0
	v_add_u32_e32 v19, v18, v4
	v_or_b32_e32 v20, 0x2000, v4
	v_mov_b32_e32 v4, s10
	v_add_co_u32_e32 v22, vcc, s9, v2
	v_cndmask_b32_e64 v2, 0, 1, s[4:5]
	v_add_u32_e32 v21, v20, v18
	v_addc_co_u32_e32 v23, vcc, v4, v3, vcc
	v_cmp_ne_u32_e64 s[4:5], 1, v2
	v_add_u32_e32 v24, 0x800, v20
	v_add_u32_e32 v25, 0x1000, v20
	;; [unrolled: 1-line block ×3, first 2 shown]
	s_branch .LBB17_4
.LBB17_3:                               ;   in Loop: Header=BB17_4 Depth=1
	s_add_i32 s7, s7, s6
	s_cmp_gt_i32 s7, s34
	s_cbranch_scc1 .LBB17_13
.LBB17_4:                               ; =>This Loop Header: Depth=1
                                        ;     Child Loop BB17_7 Depth 2
	s_and_b64 vcc, exec, s[4:5]
	s_cbranch_vccnz .LBB17_3
; %bb.5:                                ;   in Loop: Header=BB17_4 Depth=1
	v_lshl_add_u32 v27, s7, 5, v1
	v_ashrrev_i32_e32 v2, 31, v27
	v_mul_lo_u32 v4, s40, v2
	v_mul_lo_u32 v5, s41, v27
	v_mad_u64_u32 v[2:3], s[8:9], s40, v27, 0
	v_cmp_gt_i32_e32 vcc, s30, v27
	s_and_b64 s[8:9], s[2:3], vcc
	v_add3_u32 v3, v3, v4, v5
	v_lshlrev_b64 v[2:3], 3, v[2:3]
	s_mov_b32 s14, 0
	v_add_co_u32_e32 v14, vcc, v22, v2
	v_addc_co_u32_e32 v15, vcc, v23, v3, vcc
	s_branch .LBB17_7
.LBB17_6:                               ;   in Loop: Header=BB17_7 Depth=2
	s_or_b64 exec, exec, s[10:11]
	s_add_i32 s14, s14, 32
	s_cmp_ge_i32 s14, s30
	s_waitcnt vmcnt(0)
	s_barrier
	s_cbranch_scc1 .LBB17_3
.LBB17_7:                               ;   Parent Loop BB17_4 Depth=1
                                        ; =>  This Inner Loop Header: Depth=2
	v_add_u32_e32 v5, s14, v1
	v_cmp_gt_i32_e32 vcc, s30, v5
	s_and_b64 s[18:19], s[2:3], vcc
	v_mov_b32_e32 v2, 0
	v_mov_b32_e32 v3, 0
	;; [unrolled: 1-line block ×3, first 2 shown]
	s_and_saveexec_b64 s[10:11], s[18:19]
	s_cbranch_execz .LBB17_9
; %bb.8:                                ;   in Loop: Header=BB17_7 Depth=2
	v_ashrrev_i32_e32 v6, 31, v5
	v_mul_lo_u32 v7, s25, v5
	v_mad_u64_u32 v[3:4], s[18:19], s24, v5, 0
	v_mul_lo_u32 v5, s24, v6
	v_add3_u32 v4, v4, v5, v7
	v_lshlrev_b64 v[3:4], 3, v[3:4]
	v_add_co_u32_e32 v3, vcc, v16, v3
	v_addc_co_u32_e32 v4, vcc, v17, v4, vcc
	global_load_dwordx2 v[3:4], v[3:4], off
.LBB17_9:                               ;   in Loop: Header=BB17_7 Depth=2
	s_or_b64 exec, exec, s[10:11]
	s_waitcnt vmcnt(0)
	ds_write_b64 v19, v[3:4]
	v_add_u32_e32 v3, s14, v0
	v_cndmask_b32_e64 v4, v27, v3, s[0:1]
	v_cndmask_b32_e64 v5, v3, v27, s[0:1]
	v_cmp_gt_i32_e32 vcc, v4, v5
	v_cndmask_b32_e32 v4, v3, v27, vcc
	v_cndmask_b32_e32 v5, v27, v3, vcc
	v_max_i32_e32 v3, v4, v5
	v_cmp_gt_i32_e32 vcc, s30, v3
	v_mov_b32_e32 v3, 0
	s_and_saveexec_b64 s[10:11], vcc
	s_cbranch_execz .LBB17_11
; %bb.10:                               ;   in Loop: Header=BB17_7 Depth=2
	v_ashrrev_i32_e32 v6, 31, v5
	v_mul_lo_u32 v7, s17, v5
	v_mad_u64_u32 v[2:3], s[18:19], s16, v5, 0
	v_mul_lo_u32 v5, s16, v6
	v_mov_b32_e32 v6, s13
	v_add3_u32 v3, v3, v5, v7
	v_lshlrev_b64 v[2:3], 3, v[2:3]
	v_ashrrev_i32_e32 v5, 31, v4
	v_add_co_u32_e32 v7, vcc, s12, v2
	v_addc_co_u32_e32 v6, vcc, v6, v3, vcc
	v_lshlrev_b64 v[2:3], 3, v[4:5]
	v_add_co_u32_e32 v2, vcc, v7, v2
	v_addc_co_u32_e32 v3, vcc, v6, v3, vcc
	global_load_dwordx2 v[2:3], v[2:3], off
.LBB17_11:                              ;   in Loop: Header=BB17_7 Depth=2
	s_or_b64 exec, exec, s[10:11]
	s_waitcnt vmcnt(0)
	ds_write_b64 v21, v[2:3]
	s_waitcnt lgkmcnt(0)
	s_barrier
	s_and_saveexec_b64 s[10:11], s[8:9]
	s_cbranch_execz .LBB17_6
; %bb.12:                               ;   in Loop: Header=BB17_7 Depth=2
	ds_read2_b64 v[2:5], v20 offset1:32
	ds_read_b128 v[6:9], v18
	ds_read_b128 v[10:13], v18 offset:16
	s_waitcnt lgkmcnt(1)
	v_mul_f32_e32 v28, v3, v7
	v_fma_f32 v33, v2, v6, -v28
	ds_read2_b64 v[28:31], v20 offset0:64 offset1:96
	v_mul_f32_e32 v32, v2, v7
	v_mul_f32_e32 v2, v5, v9
	v_fma_f32 v34, v4, v8, -v2
	v_fmac_f32_e32 v32, v3, v6
	s_waitcnt lgkmcnt(0)
	v_mul_f32_e32 v2, v29, v11
	v_mul_f32_e32 v35, v4, v9
	v_fma_f32 v36, v28, v10, -v2
	v_mul_f32_e32 v28, v28, v11
	v_mul_f32_e32 v2, v31, v13
	v_fmac_f32_e32 v35, v5, v8
	v_fmac_f32_e32 v28, v29, v10
	v_fma_f32 v29, v30, v12, -v2
	v_mul_f32_e32 v30, v30, v13
	v_add_f32_e32 v10, 0, v33
	v_add_f32_e32 v11, 0, v32
	v_fmac_f32_e32 v30, v31, v12
	ds_read_b128 v[2:5], v18 offset:32
	ds_read_b128 v[6:9], v18 offset:48
	v_add_f32_e32 v31, v10, v34
	v_add_f32_e32 v32, v11, v35
	ds_read2_b64 v[10:13], v20 offset0:128 offset1:160
	v_add_f32_e32 v28, v32, v28
	v_add_f32_e32 v31, v31, v36
	;; [unrolled: 1-line block ×4, first 2 shown]
	s_waitcnt lgkmcnt(0)
	v_mul_f32_e32 v30, v11, v3
	v_mul_f32_e32 v3, v10, v3
	v_fma_f32 v30, v10, v2, -v30
	v_fmac_f32_e32 v3, v11, v2
	v_add_f32_e32 v2, v29, v30
	v_add_f32_e32 v3, v28, v3
	ds_read2_b64 v[28:31], v20 offset0:192 offset1:224
	v_mul_f32_e32 v10, v13, v5
	v_mul_f32_e32 v5, v12, v5
	v_fma_f32 v10, v12, v4, -v10
	v_fmac_f32_e32 v5, v13, v4
	s_waitcnt lgkmcnt(0)
	v_mul_f32_e32 v4, v29, v7
	v_add_f32_e32 v2, v2, v10
	v_add_f32_e32 v3, v3, v5
	v_fma_f32 v4, v28, v6, -v4
	v_mul_f32_e32 v5, v28, v7
	v_fmac_f32_e32 v5, v29, v6
	v_add_f32_e32 v6, v2, v4
	v_mul_f32_e32 v2, v31, v9
	v_add_f32_e32 v7, v3, v5
	v_fma_f32 v13, v30, v8, -v2
	v_mul_f32_e32 v28, v30, v9
	ds_read_b128 v[2:5], v18 offset:64
	ds_read2_b64 v[9:12], v24 offset1:32
	v_fmac_f32_e32 v28, v31, v8
	v_add_f32_e32 v6, v6, v13
	v_add_f32_e32 v7, v7, v28
	ds_read_b128 v[28:31], v18 offset:80
	s_waitcnt lgkmcnt(1)
	v_mul_f32_e32 v8, v10, v3
	v_fma_f32 v8, v9, v2, -v8
	v_mul_f32_e32 v3, v9, v3
	v_fmac_f32_e32 v3, v10, v2
	v_add_f32_e32 v2, v6, v8
	v_mul_f32_e32 v6, v12, v5
	v_add_f32_e32 v3, v7, v3
	v_fma_f32 v10, v11, v4, -v6
	ds_read2_b64 v[6:9], v24 offset0:64 offset1:96
	v_mul_f32_e32 v5, v11, v5
	v_fmac_f32_e32 v5, v12, v4
	v_add_f32_e32 v2, v2, v10
	v_add_f32_e32 v3, v3, v5
	s_waitcnt lgkmcnt(0)
	v_mul_f32_e32 v4, v7, v29
	v_fma_f32 v4, v6, v28, -v4
	v_mul_f32_e32 v5, v6, v29
	v_fmac_f32_e32 v5, v7, v28
	v_add_f32_e32 v6, v2, v4
	v_mul_f32_e32 v2, v9, v31
	v_add_f32_e32 v7, v3, v5
	v_fma_f32 v28, v8, v30, -v2
	ds_read_b128 v[2:5], v18 offset:96
	ds_read2_b64 v[10:13], v24 offset0:128 offset1:160
	v_mul_f32_e32 v8, v8, v31
	v_fmac_f32_e32 v8, v9, v30
	v_add_f32_e32 v28, v6, v28
	v_add_f32_e32 v29, v7, v8
	s_waitcnt lgkmcnt(0)
	v_mul_f32_e32 v30, v11, v3
	v_mul_f32_e32 v3, v10, v3
	v_fma_f32 v30, v10, v2, -v30
	v_fmac_f32_e32 v3, v11, v2
	ds_read_b128 v[6:9], v18 offset:112
	v_add_f32_e32 v2, v28, v30
	v_add_f32_e32 v3, v29, v3
	ds_read2_b64 v[28:31], v24 offset0:192 offset1:224
	v_mul_f32_e32 v10, v13, v5
	v_mul_f32_e32 v5, v12, v5
	v_fma_f32 v10, v12, v4, -v10
	v_fmac_f32_e32 v5, v13, v4
	s_waitcnt lgkmcnt(0)
	v_mul_f32_e32 v4, v29, v7
	v_add_f32_e32 v2, v2, v10
	v_add_f32_e32 v3, v3, v5
	v_fma_f32 v4, v28, v6, -v4
	v_mul_f32_e32 v5, v28, v7
	v_fmac_f32_e32 v5, v29, v6
	v_add_f32_e32 v6, v2, v4
	v_mul_f32_e32 v2, v31, v9
	v_add_f32_e32 v7, v3, v5
	v_fma_f32 v13, v30, v8, -v2
	v_mul_f32_e32 v28, v30, v9
	ds_read_b128 v[2:5], v18 offset:128
	ds_read2_b64 v[9:12], v25 offset1:32
	v_fmac_f32_e32 v28, v31, v8
	v_add_f32_e32 v6, v6, v13
	v_add_f32_e32 v7, v7, v28
	ds_read_b128 v[28:31], v18 offset:144
	s_waitcnt lgkmcnt(1)
	v_mul_f32_e32 v8, v10, v3
	v_fma_f32 v8, v9, v2, -v8
	v_mul_f32_e32 v3, v9, v3
	ds_read2_b64 v[32:35], v25 offset0:64 offset1:96
	v_fmac_f32_e32 v3, v10, v2
	v_add_f32_e32 v2, v6, v8
	v_mul_f32_e32 v6, v12, v5
	v_fma_f32 v6, v11, v4, -v6
	v_mul_f32_e32 v5, v11, v5
	v_add_f32_e32 v3, v7, v3
	v_fmac_f32_e32 v5, v12, v4
	v_add_f32_e32 v2, v2, v6
	ds_read_b128 v[6:9], v18 offset:160
	ds_read2_b64 v[10:13], v25 offset0:128 offset1:160
	v_add_f32_e32 v3, v3, v5
	s_waitcnt lgkmcnt(2)
	v_mul_f32_e32 v4, v33, v29
	v_mul_f32_e32 v5, v32, v29
	v_fma_f32 v4, v32, v28, -v4
	v_fmac_f32_e32 v5, v33, v28
	v_add_f32_e32 v2, v2, v4
	v_add_f32_e32 v3, v3, v5
	v_mul_f32_e32 v4, v35, v31
	v_mul_f32_e32 v5, v34, v31
	v_fma_f32 v4, v34, v30, -v4
	v_fmac_f32_e32 v5, v35, v30
	s_waitcnt lgkmcnt(0)
	v_mul_f32_e32 v30, v11, v7
	v_mul_f32_e32 v31, v10, v7
	v_fma_f32 v30, v10, v6, -v30
	v_fmac_f32_e32 v31, v11, v6
	v_mul_f32_e32 v6, v13, v9
	v_fma_f32 v32, v12, v8, -v6
	global_load_dwordx2 v[6:7], v[14:15], off
	v_mul_f32_e32 v12, v12, v9
	v_add_f32_e32 v28, v2, v4
	v_add_f32_e32 v29, v3, v5
	ds_read_b128 v[2:5], v18 offset:176
	v_fmac_f32_e32 v12, v13, v8
	ds_read2_b64 v[8:11], v25 offset0:192 offset1:224
	v_add_f32_e32 v13, v28, v30
	v_add_f32_e32 v28, v29, v31
	;; [unrolled: 1-line block ×4, first 2 shown]
	s_waitcnt lgkmcnt(0)
	v_mul_f32_e32 v28, v9, v3
	v_mul_f32_e32 v29, v8, v3
	v_fma_f32 v28, v8, v2, -v28
	v_fmac_f32_e32 v29, v9, v2
	v_mul_f32_e32 v2, v11, v5
	v_mul_f32_e32 v30, v10, v5
	v_add_f32_e32 v13, v13, v28
	v_fma_f32 v28, v10, v4, -v2
	v_fmac_f32_e32 v30, v11, v4
	ds_read_b128 v[2:5], v18 offset:192
	ds_read2_b64 v[8:11], v26 offset1:32
	v_add_f32_e32 v12, v12, v29
	v_add_f32_e32 v13, v13, v28
	;; [unrolled: 1-line block ×3, first 2 shown]
	ds_read_b128 v[28:31], v18 offset:208
	s_waitcnt lgkmcnt(1)
	v_mul_f32_e32 v32, v9, v3
	v_fma_f32 v32, v8, v2, -v32
	v_mul_f32_e32 v8, v8, v3
	v_fmac_f32_e32 v8, v9, v2
	v_mul_f32_e32 v2, v11, v5
	v_fma_f32 v9, v10, v4, -v2
	v_mul_f32_e32 v10, v10, v5
	v_fmac_f32_e32 v10, v11, v4
	ds_read2_b64 v[2:5], v26 offset0:64 offset1:96
	v_add_f32_e32 v8, v12, v8
	v_add_f32_e32 v11, v13, v32
	;; [unrolled: 1-line block ×4, first 2 shown]
	s_waitcnt lgkmcnt(0)
	v_mul_f32_e32 v8, v3, v29
	v_fma_f32 v8, v2, v28, -v8
	v_mul_f32_e32 v13, v2, v29
	v_mul_f32_e32 v2, v5, v31
	;; [unrolled: 1-line block ×3, first 2 shown]
	v_fmac_f32_e32 v13, v3, v28
	v_add_f32_e32 v28, v9, v8
	v_fma_f32 v29, v4, v30, -v2
	v_fmac_f32_e32 v31, v5, v30
	ds_read_b128 v[2:5], v18 offset:224
	ds_read2_b64 v[8:11], v26 offset0:128 offset1:160
	v_add_f32_e32 v12, v12, v13
	v_add_f32_e32 v13, v28, v29
	;; [unrolled: 1-line block ×3, first 2 shown]
	ds_read_b128 v[28:31], v18 offset:240
	s_waitcnt lgkmcnt(1)
	v_mul_f32_e32 v32, v9, v3
	v_fma_f32 v32, v8, v2, -v32
	v_mul_f32_e32 v8, v8, v3
	v_fmac_f32_e32 v8, v9, v2
	v_mul_f32_e32 v2, v11, v5
	v_fma_f32 v9, v10, v4, -v2
	v_mul_f32_e32 v10, v10, v5
	v_fmac_f32_e32 v10, v11, v4
	ds_read2_b64 v[2:5], v26 offset0:192 offset1:224
	v_add_f32_e32 v8, v12, v8
	v_add_f32_e32 v8, v8, v10
	;; [unrolled: 1-line block ×4, first 2 shown]
	s_waitcnt lgkmcnt(0)
	v_mul_f32_e32 v10, v3, v29
	v_fma_f32 v10, v2, v28, -v10
	v_mul_f32_e32 v2, v2, v29
	v_fmac_f32_e32 v2, v3, v28
	v_add_f32_e32 v2, v8, v2
	v_mul_f32_e32 v8, v5, v31
	v_fma_f32 v8, v4, v30, -v8
	v_mul_f32_e32 v4, v4, v31
	v_fmac_f32_e32 v4, v5, v30
	v_add_f32_e32 v3, v9, v10
	v_add_f32_e32 v2, v2, v4
	;; [unrolled: 1-line block ×3, first 2 shown]
	v_mul_f32_e32 v4, s33, v2
	v_fma_f32 v4, s31, v3, -v4
	v_mul_f32_e32 v3, s33, v3
	v_fmac_f32_e32 v3, s31, v2
	s_waitcnt vmcnt(0)
	v_add_f32_e32 v2, v6, v4
	v_add_f32_e32 v3, v7, v3
	global_store_dwordx2 v[14:15], v[2:3], off
	s_branch .LBB17_6
.LBB17_13:
	s_endpgm
	.section	.rodata,"a",@progbits
	.p2align	6, 0x0
	.amdhsa_kernel _ZL24rocblas_symm_hemm_kernelILb0ELb1ELi32E19rocblas_complex_numIfEPKS1_PS1_EvbiiT2_T3_lllS6_lllT4_llli
		.amdhsa_group_segment_fixed_size 16384
		.amdhsa_private_segment_fixed_size 0
		.amdhsa_kernarg_size 384
		.amdhsa_user_sgpr_count 6
		.amdhsa_user_sgpr_private_segment_buffer 1
		.amdhsa_user_sgpr_dispatch_ptr 0
		.amdhsa_user_sgpr_queue_ptr 0
		.amdhsa_user_sgpr_kernarg_segment_ptr 1
		.amdhsa_user_sgpr_dispatch_id 0
		.amdhsa_user_sgpr_flat_scratch_init 0
		.amdhsa_user_sgpr_private_segment_size 0
		.amdhsa_uses_dynamic_stack 0
		.amdhsa_system_sgpr_private_segment_wavefront_offset 0
		.amdhsa_system_sgpr_workgroup_id_x 1
		.amdhsa_system_sgpr_workgroup_id_y 1
		.amdhsa_system_sgpr_workgroup_id_z 1
		.amdhsa_system_sgpr_workgroup_info 0
		.amdhsa_system_vgpr_workitem_id 1
		.amdhsa_next_free_vgpr 37
		.amdhsa_next_free_sgpr 61
		.amdhsa_reserve_vcc 1
		.amdhsa_reserve_flat_scratch 0
		.amdhsa_float_round_mode_32 0
		.amdhsa_float_round_mode_16_64 0
		.amdhsa_float_denorm_mode_32 3
		.amdhsa_float_denorm_mode_16_64 3
		.amdhsa_dx10_clamp 1
		.amdhsa_ieee_mode 1
		.amdhsa_fp16_overflow 0
		.amdhsa_exception_fp_ieee_invalid_op 0
		.amdhsa_exception_fp_denorm_src 0
		.amdhsa_exception_fp_ieee_div_zero 0
		.amdhsa_exception_fp_ieee_overflow 0
		.amdhsa_exception_fp_ieee_underflow 0
		.amdhsa_exception_fp_ieee_inexact 0
		.amdhsa_exception_int_div_zero 0
	.end_amdhsa_kernel
	.section	.text._ZL24rocblas_symm_hemm_kernelILb0ELb1ELi32E19rocblas_complex_numIfEPKS1_PS1_EvbiiT2_T3_lllS6_lllT4_llli,"axG",@progbits,_ZL24rocblas_symm_hemm_kernelILb0ELb1ELi32E19rocblas_complex_numIfEPKS1_PS1_EvbiiT2_T3_lllS6_lllT4_llli,comdat
.Lfunc_end17:
	.size	_ZL24rocblas_symm_hemm_kernelILb0ELb1ELi32E19rocblas_complex_numIfEPKS1_PS1_EvbiiT2_T3_lllS6_lllT4_llli, .Lfunc_end17-_ZL24rocblas_symm_hemm_kernelILb0ELb1ELi32E19rocblas_complex_numIfEPKS1_PS1_EvbiiT2_T3_lllS6_lllT4_llli
                                        ; -- End function
	.set _ZL24rocblas_symm_hemm_kernelILb0ELb1ELi32E19rocblas_complex_numIfEPKS1_PS1_EvbiiT2_T3_lllS6_lllT4_llli.num_vgpr, 37
	.set _ZL24rocblas_symm_hemm_kernelILb0ELb1ELi32E19rocblas_complex_numIfEPKS1_PS1_EvbiiT2_T3_lllS6_lllT4_llli.num_agpr, 0
	.set _ZL24rocblas_symm_hemm_kernelILb0ELb1ELi32E19rocblas_complex_numIfEPKS1_PS1_EvbiiT2_T3_lllS6_lllT4_llli.numbered_sgpr, 44
	.set _ZL24rocblas_symm_hemm_kernelILb0ELb1ELi32E19rocblas_complex_numIfEPKS1_PS1_EvbiiT2_T3_lllS6_lllT4_llli.num_named_barrier, 0
	.set _ZL24rocblas_symm_hemm_kernelILb0ELb1ELi32E19rocblas_complex_numIfEPKS1_PS1_EvbiiT2_T3_lllS6_lllT4_llli.private_seg_size, 0
	.set _ZL24rocblas_symm_hemm_kernelILb0ELb1ELi32E19rocblas_complex_numIfEPKS1_PS1_EvbiiT2_T3_lllS6_lllT4_llli.uses_vcc, 1
	.set _ZL24rocblas_symm_hemm_kernelILb0ELb1ELi32E19rocblas_complex_numIfEPKS1_PS1_EvbiiT2_T3_lllS6_lllT4_llli.uses_flat_scratch, 0
	.set _ZL24rocblas_symm_hemm_kernelILb0ELb1ELi32E19rocblas_complex_numIfEPKS1_PS1_EvbiiT2_T3_lllS6_lllT4_llli.has_dyn_sized_stack, 0
	.set _ZL24rocblas_symm_hemm_kernelILb0ELb1ELi32E19rocblas_complex_numIfEPKS1_PS1_EvbiiT2_T3_lllS6_lllT4_llli.has_recursion, 0
	.set _ZL24rocblas_symm_hemm_kernelILb0ELb1ELi32E19rocblas_complex_numIfEPKS1_PS1_EvbiiT2_T3_lllS6_lllT4_llli.has_indirect_call, 0
	.section	.AMDGPU.csdata,"",@progbits
; Kernel info:
; codeLenInByte = 2028
; TotalNumSgprs: 48
; NumVgprs: 37
; ScratchSize: 0
; MemoryBound: 0
; FloatMode: 240
; IeeeMode: 1
; LDSByteSize: 16384 bytes/workgroup (compile time only)
; SGPRBlocks: 8
; VGPRBlocks: 9
; NumSGPRsForWavesPerEU: 65
; NumVGPRsForWavesPerEU: 37
; Occupancy: 6
; WaveLimiterHint : 0
; COMPUTE_PGM_RSRC2:SCRATCH_EN: 0
; COMPUTE_PGM_RSRC2:USER_SGPR: 6
; COMPUTE_PGM_RSRC2:TRAP_HANDLER: 0
; COMPUTE_PGM_RSRC2:TGID_X_EN: 1
; COMPUTE_PGM_RSRC2:TGID_Y_EN: 1
; COMPUTE_PGM_RSRC2:TGID_Z_EN: 1
; COMPUTE_PGM_RSRC2:TIDIG_COMP_CNT: 1
	.section	.text._ZL25rocblas_symm_scale_kernelILi128ELi8EPK19rocblas_complex_numIdEPS1_EviiT1_T2_llli,"axG",@progbits,_ZL25rocblas_symm_scale_kernelILi128ELi8EPK19rocblas_complex_numIdEPS1_EviiT1_T2_llli,comdat
	.globl	_ZL25rocblas_symm_scale_kernelILi128ELi8EPK19rocblas_complex_numIdEPS1_EviiT1_T2_llli ; -- Begin function _ZL25rocblas_symm_scale_kernelILi128ELi8EPK19rocblas_complex_numIdEPS1_EviiT1_T2_llli
	.p2align	8
	.type	_ZL25rocblas_symm_scale_kernelILi128ELi8EPK19rocblas_complex_numIdEPS1_EviiT1_T2_llli,@function
_ZL25rocblas_symm_scale_kernelILi128ELi8EPK19rocblas_complex_numIdEPS1_EviiT1_T2_llli: ; @_ZL25rocblas_symm_scale_kernelILi128ELi8EPK19rocblas_complex_numIdEPS1_EviiT1_T2_llli
; %bb.0:
	s_load_dwordx8 s[12:19], s[4:5], 0x8
	s_waitcnt lgkmcnt(0)
	s_load_dwordx4 s[20:23], s[12:13], 0x0
	s_waitcnt lgkmcnt(0)
	v_cmp_eq_f64_e64 s[0:1], s[20:21], 1.0
	v_cmp_eq_f64_e64 s[2:3], s[22:23], 0
	s_and_b64 s[0:1], s[0:1], s[2:3]
	s_and_b64 vcc, exec, s[0:1]
	s_cbranch_vccnz .LBB18_6
; %bb.1:
	s_load_dwordx2 s[0:1], s[4:5], 0x0
	v_lshl_add_u32 v4, s7, 3, v1
	v_mov_b32_e32 v5, 0
	v_lshl_add_u32 v0, s6, 7, v0
	s_waitcnt lgkmcnt(0)
	s_ashr_i32 s3, s1, 31
	s_mov_b32 s2, s1
	v_cmp_gt_i64_e32 vcc, s[2:3], v[4:5]
	v_cmp_gt_u32_e64 s[0:1], s0, v0
	s_and_b64 s[0:1], s[0:1], vcc
	s_and_saveexec_b64 s[6:7], s[0:1]
	s_cbranch_execz .LBB18_6
; %bb.2:
	v_cmp_neq_f64_e64 s[0:1], s[20:21], 0
	v_cmp_neq_f64_e64 s[10:11], s[22:23], 0
	s_load_dwordx2 s[12:13], s[4:5], 0x28
	s_load_dword s9, s[4:5], 0x3c
	v_mad_u64_u32 v[2:3], s[4:5], s18, v4, 0
	v_mov_b32_e32 v1, v5
	v_lshlrev_b64 v[0:1], 4, v[0:1]
	v_mad_u64_u32 v[6:7], s[4:5], s19, v4, v[3:4]
	s_or_b64 s[0:1], s[0:1], s[10:11]
	s_waitcnt lgkmcnt(0)
	s_mul_i32 s10, s13, s8
	s_mul_hi_u32 s11, s12, s8
	s_add_i32 s5, s11, s10
	s_mul_i32 s4, s12, s8
	s_lshl_b32 s9, s9, 3
	s_lshl_b64 s[4:5], s[4:5], 4
	v_mov_b32_e32 v3, v6
	s_lshl_b64 s[10:11], s[16:17], 4
	v_lshlrev_b64 v[2:3], 4, v[2:3]
	s_add_u32 s4, s10, s4
	s_addc_u32 s5, s11, s5
	v_mov_b32_e32 v6, s5
	v_add_co_u32_e32 v2, vcc, s4, v2
	v_addc_co_u32_e32 v3, vcc, v6, v3, vcc
	v_add_co_u32_e32 v0, vcc, v2, v0
	v_addc_co_u32_e32 v1, vcc, v3, v1, vcc
	v_mov_b32_e32 v2, s15
	v_add_co_u32_e32 v0, vcc, s14, v0
	v_addc_co_u32_e32 v1, vcc, v2, v1, vcc
	s_mul_i32 s4, s19, s9
	s_mul_hi_u32 s5, s18, s9
	v_add_co_u32_e32 v6, vcc, 8, v0
	s_add_i32 s5, s5, s4
	s_mul_i32 s4, s18, s9
	v_cndmask_b32_e64 v0, 0, 1, s[0:1]
	s_mov_b64 s[6:7], 0
	v_addc_co_u32_e32 v7, vcc, 0, v1, vcc
	s_lshl_b64 s[4:5], s[4:5], 4
	v_cmp_ne_u32_e64 s[0:1], 1, v0
	s_branch .LBB18_4
.LBB18_3:                               ;   in Loop: Header=BB18_4 Depth=1
	v_add_co_u32_e32 v4, vcc, s9, v4
	v_addc_co_u32_e32 v5, vcc, 0, v5, vcc
	v_cmp_le_i64_e32 vcc, s[2:3], v[4:5]
	global_store_dwordx4 v[6:7], v[0:3], off offset:-8
	s_or_b64 s[6:7], vcc, s[6:7]
	v_mov_b32_e32 v0, s5
	v_add_co_u32_e32 v6, vcc, s4, v6
	v_addc_co_u32_e32 v7, vcc, v7, v0, vcc
	s_andn2_b64 exec, exec, s[6:7]
	s_cbranch_execz .LBB18_6
.LBB18_4:                               ; =>This Inner Loop Header: Depth=1
	v_mov_b32_e32 v2, 0
	v_mov_b32_e32 v0, 0
	;; [unrolled: 1-line block ×3, first 2 shown]
	s_and_b64 vcc, exec, s[0:1]
	v_mov_b32_e32 v1, 0
	s_cbranch_vccnz .LBB18_3
; %bb.5:                                ;   in Loop: Header=BB18_4 Depth=1
	global_load_dwordx4 v[8:11], v[6:7], off offset:-8
	s_waitcnt vmcnt(0)
	v_mul_f64 v[0:1], s[22:23], v[10:11]
	v_mul_f64 v[2:3], s[20:21], v[10:11]
	v_fma_f64 v[0:1], s[20:21], v[8:9], -v[0:1]
	v_fma_f64 v[2:3], s[22:23], v[8:9], v[2:3]
	s_branch .LBB18_3
.LBB18_6:
	s_endpgm
	.section	.rodata,"a",@progbits
	.p2align	6, 0x0
	.amdhsa_kernel _ZL25rocblas_symm_scale_kernelILi128ELi8EPK19rocblas_complex_numIdEPS1_EviiT1_T2_llli
		.amdhsa_group_segment_fixed_size 0
		.amdhsa_private_segment_fixed_size 0
		.amdhsa_kernarg_size 312
		.amdhsa_user_sgpr_count 6
		.amdhsa_user_sgpr_private_segment_buffer 1
		.amdhsa_user_sgpr_dispatch_ptr 0
		.amdhsa_user_sgpr_queue_ptr 0
		.amdhsa_user_sgpr_kernarg_segment_ptr 1
		.amdhsa_user_sgpr_dispatch_id 0
		.amdhsa_user_sgpr_flat_scratch_init 0
		.amdhsa_user_sgpr_private_segment_size 0
		.amdhsa_uses_dynamic_stack 0
		.amdhsa_system_sgpr_private_segment_wavefront_offset 0
		.amdhsa_system_sgpr_workgroup_id_x 1
		.amdhsa_system_sgpr_workgroup_id_y 1
		.amdhsa_system_sgpr_workgroup_id_z 1
		.amdhsa_system_sgpr_workgroup_info 0
		.amdhsa_system_vgpr_workitem_id 1
		.amdhsa_next_free_vgpr 12
		.amdhsa_next_free_sgpr 24
		.amdhsa_reserve_vcc 1
		.amdhsa_reserve_flat_scratch 0
		.amdhsa_float_round_mode_32 0
		.amdhsa_float_round_mode_16_64 0
		.amdhsa_float_denorm_mode_32 3
		.amdhsa_float_denorm_mode_16_64 3
		.amdhsa_dx10_clamp 1
		.amdhsa_ieee_mode 1
		.amdhsa_fp16_overflow 0
		.amdhsa_exception_fp_ieee_invalid_op 0
		.amdhsa_exception_fp_denorm_src 0
		.amdhsa_exception_fp_ieee_div_zero 0
		.amdhsa_exception_fp_ieee_overflow 0
		.amdhsa_exception_fp_ieee_underflow 0
		.amdhsa_exception_fp_ieee_inexact 0
		.amdhsa_exception_int_div_zero 0
	.end_amdhsa_kernel
	.section	.text._ZL25rocblas_symm_scale_kernelILi128ELi8EPK19rocblas_complex_numIdEPS1_EviiT1_T2_llli,"axG",@progbits,_ZL25rocblas_symm_scale_kernelILi128ELi8EPK19rocblas_complex_numIdEPS1_EviiT1_T2_llli,comdat
.Lfunc_end18:
	.size	_ZL25rocblas_symm_scale_kernelILi128ELi8EPK19rocblas_complex_numIdEPS1_EviiT1_T2_llli, .Lfunc_end18-_ZL25rocblas_symm_scale_kernelILi128ELi8EPK19rocblas_complex_numIdEPS1_EviiT1_T2_llli
                                        ; -- End function
	.set _ZL25rocblas_symm_scale_kernelILi128ELi8EPK19rocblas_complex_numIdEPS1_EviiT1_T2_llli.num_vgpr, 12
	.set _ZL25rocblas_symm_scale_kernelILi128ELi8EPK19rocblas_complex_numIdEPS1_EviiT1_T2_llli.num_agpr, 0
	.set _ZL25rocblas_symm_scale_kernelILi128ELi8EPK19rocblas_complex_numIdEPS1_EviiT1_T2_llli.numbered_sgpr, 24
	.set _ZL25rocblas_symm_scale_kernelILi128ELi8EPK19rocblas_complex_numIdEPS1_EviiT1_T2_llli.num_named_barrier, 0
	.set _ZL25rocblas_symm_scale_kernelILi128ELi8EPK19rocblas_complex_numIdEPS1_EviiT1_T2_llli.private_seg_size, 0
	.set _ZL25rocblas_symm_scale_kernelILi128ELi8EPK19rocblas_complex_numIdEPS1_EviiT1_T2_llli.uses_vcc, 1
	.set _ZL25rocblas_symm_scale_kernelILi128ELi8EPK19rocblas_complex_numIdEPS1_EviiT1_T2_llli.uses_flat_scratch, 0
	.set _ZL25rocblas_symm_scale_kernelILi128ELi8EPK19rocblas_complex_numIdEPS1_EviiT1_T2_llli.has_dyn_sized_stack, 0
	.set _ZL25rocblas_symm_scale_kernelILi128ELi8EPK19rocblas_complex_numIdEPS1_EviiT1_T2_llli.has_recursion, 0
	.set _ZL25rocblas_symm_scale_kernelILi128ELi8EPK19rocblas_complex_numIdEPS1_EviiT1_T2_llli.has_indirect_call, 0
	.section	.AMDGPU.csdata,"",@progbits
; Kernel info:
; codeLenInByte = 436
; TotalNumSgprs: 28
; NumVgprs: 12
; ScratchSize: 0
; MemoryBound: 0
; FloatMode: 240
; IeeeMode: 1
; LDSByteSize: 0 bytes/workgroup (compile time only)
; SGPRBlocks: 3
; VGPRBlocks: 2
; NumSGPRsForWavesPerEU: 28
; NumVGPRsForWavesPerEU: 12
; Occupancy: 10
; WaveLimiterHint : 0
; COMPUTE_PGM_RSRC2:SCRATCH_EN: 0
; COMPUTE_PGM_RSRC2:USER_SGPR: 6
; COMPUTE_PGM_RSRC2:TRAP_HANDLER: 0
; COMPUTE_PGM_RSRC2:TGID_X_EN: 1
; COMPUTE_PGM_RSRC2:TGID_Y_EN: 1
; COMPUTE_PGM_RSRC2:TGID_Z_EN: 1
; COMPUTE_PGM_RSRC2:TIDIG_COMP_CNT: 1
	.section	.text._ZL24rocblas_symm_hemm_kernelILb0ELb0ELi32EPK19rocblas_complex_numIdES3_PS1_EvbiiT2_T3_lllS6_lllT4_llli,"axG",@progbits,_ZL24rocblas_symm_hemm_kernelILb0ELb0ELi32EPK19rocblas_complex_numIdES3_PS1_EvbiiT2_T3_lllS6_lllT4_llli,comdat
	.globl	_ZL24rocblas_symm_hemm_kernelILb0ELb0ELi32EPK19rocblas_complex_numIdES3_PS1_EvbiiT2_T3_lllS6_lllT4_llli ; -- Begin function _ZL24rocblas_symm_hemm_kernelILb0ELb0ELi32EPK19rocblas_complex_numIdES3_PS1_EvbiiT2_T3_lllS6_lllT4_llli
	.p2align	8
	.type	_ZL24rocblas_symm_hemm_kernelILb0ELb0ELi32EPK19rocblas_complex_numIdES3_PS1_EvbiiT2_T3_lllS6_lllT4_llli,@function
_ZL24rocblas_symm_hemm_kernelILb0ELb0ELi32EPK19rocblas_complex_numIdES3_PS1_EvbiiT2_T3_lllS6_lllT4_llli: ; @_ZL24rocblas_symm_hemm_kernelILb0ELb0ELi32EPK19rocblas_complex_numIdES3_PS1_EvbiiT2_T3_lllS6_lllT4_llli
; %bb.0:
	s_load_dwordx16 s[12:27], s[4:5], 0x10
	s_waitcnt lgkmcnt(0)
	s_load_dwordx4 s[28:31], s[12:13], 0x0
	s_waitcnt lgkmcnt(0)
	v_cmp_eq_f64_e64 s[0:1], s[28:29], 0
	v_cmp_eq_f64_e64 s[2:3], s[30:31], 0
	s_and_b64 s[0:1], s[0:1], s[2:3]
	s_and_b64 vcc, exec, s[0:1]
	s_cbranch_vccnz .LBB19_13
; %bb.1:
	s_load_dwordx4 s[44:47], s[4:5], 0x0
	s_waitcnt lgkmcnt(0)
	s_add_i32 s0, s46, -1
	s_ashr_i32 s1, s0, 31
	s_lshr_b32 s1, s1, 27
	s_add_i32 s0, s0, s1
	s_ashr_i32 s33, s0, 5
	s_cmp_gt_i32 s7, s33
	s_cbranch_scc1 .LBB19_13
; %bb.2:
	s_mul_i32 s0, s21, s8
	s_mul_hi_u32 s1, s20, s8
	s_add_i32 s1, s1, s0
	s_mul_i32 s0, s20, s8
	s_load_dwordx8 s[36:43], s[4:5], 0x50
	s_load_dwordx2 s[2:3], s[4:5], 0x70
	s_lshl_b64 s[0:1], s[0:1], 4
	s_add_u32 s9, s14, s0
	s_addc_u32 s10, s15, s1
	s_lshl_b64 s[0:1], s[16:17], 4
	s_add_u32 s14, s9, s0
	s_addc_u32 s15, s10, s1
	s_waitcnt lgkmcnt(0)
	s_mul_i32 s0, s37, s8
	s_mul_hi_u32 s1, s36, s8
	s_add_i32 s1, s1, s0
	s_mul_i32 s0, s36, s8
	s_lshl_b64 s[0:1], s[0:1], 4
	s_add_u32 s9, s22, s0
	s_addc_u32 s10, s23, s1
	s_lshl_b64 s[0:1], s[24:25], 4
	s_add_u32 s16, s9, s0
	s_addc_u32 s17, s10, s1
	s_bitcmp1_b32 s44, 0
	s_load_dword s20, s[4:5], 0x84
	s_mul_i32 s3, s3, s8
	s_mul_hi_u32 s4, s2, s8
	s_cselect_b64 s[0:1], -1, 0
	s_add_i32 s3, s4, s3
	s_mul_i32 s2, s2, s8
	s_lshl_b64 s[2:3], s[2:3], 4
	s_add_u32 s4, s38, s2
	s_addc_u32 s5, s39, s3
	s_lshl_b64 s[2:3], s[40:41], 4
	v_lshl_add_u32 v14, s6, 5, v0
	s_add_u32 s4, s4, s2
	v_lshlrev_b32_e32 v29, 9, v0
	v_lshlrev_b32_e32 v2, 4, v1
	v_ashrrev_i32_e32 v15, 31, v14
	s_addc_u32 s5, s5, s3
	v_add_u32_e32 v30, v29, v2
	v_or_b32_e32 v31, 0x4000, v2
	v_lshlrev_b64 v[2:3], 4, v[14:15]
	s_cmp_gt_i32 s45, 0
	v_mov_b32_e32 v4, s5
	v_add_co_u32_e32 v33, vcc, s4, v2
	s_cselect_b64 s[4:5], -1, 0
	v_cndmask_b32_e64 v2, 0, 1, s[4:5]
	v_add_u32_e32 v32, v31, v29
	v_cmp_gt_i32_e64 s[2:3], s45, v14
	v_addc_co_u32_e32 v34, vcc, v4, v3, vcc
	v_cmp_ne_u32_e64 s[4:5], 1, v2
	s_branch .LBB19_4
.LBB19_3:                               ;   in Loop: Header=BB19_4 Depth=1
	s_waitcnt lgkmcnt(0)
	s_add_i32 s7, s7, s20
	s_cmp_gt_i32 s7, s33
	s_cbranch_scc1 .LBB19_13
.LBB19_4:                               ; =>This Loop Header: Depth=1
                                        ;     Child Loop BB19_7 Depth 2
	s_and_b64 vcc, exec, s[4:5]
	s_cbranch_vccnz .LBB19_3
; %bb.5:                                ;   in Loop: Header=BB19_4 Depth=1
	v_lshl_add_u32 v4, s7, 5, v1
	v_ashrrev_i32_e32 v5, 31, v4
	v_mul_lo_u32 v6, s26, v5
	v_mul_lo_u32 v7, s27, v4
	v_mad_u64_u32 v[2:3], s[8:9], s26, v4, 0
	v_cmp_gt_i32_e32 vcc, s46, v4
	v_mul_lo_u32 v8, s43, v4
	v_add3_u32 v3, v3, v6, v7
	v_mul_lo_u32 v7, s42, v5
	v_mad_u64_u32 v[4:5], s[8:9], s42, v4, 0
	v_lshlrev_b64 v[2:3], 4, v[2:3]
	v_mov_b32_e32 v6, s17
	v_add_co_u32_e64 v35, s[8:9], s16, v2
	v_add3_u32 v5, v5, v7, v8
	v_addc_co_u32_e64 v36, s[8:9], v6, v3, s[8:9]
	v_lshlrev_b64 v[2:3], 4, v[4:5]
	s_and_b64 s[10:11], s[2:3], vcc
	v_add_co_u32_e64 v15, s[8:9], v33, v2
	v_addc_co_u32_e64 v16, s[8:9], v34, v3, s[8:9]
	s_mov_b32 s6, 0
	s_branch .LBB19_7
.LBB19_6:                               ;   in Loop: Header=BB19_7 Depth=2
	s_or_b64 exec, exec, s[8:9]
	s_add_i32 s6, s6, 32
	s_cmp_ge_i32 s6, s45
	s_waitcnt vmcnt(0)
	s_barrier
	s_cbranch_scc1 .LBB19_3
.LBB19_7:                               ;   Parent Loop BB19_4 Depth=1
                                        ; =>  This Inner Loop Header: Depth=2
	v_add_u32_e32 v2, s6, v1
	v_cndmask_b32_e64 v3, v2, v14, s[0:1]
	v_cndmask_b32_e64 v4, v14, v2, s[0:1]
	v_cmp_gt_i32_e64 s[8:9], v3, v4
	v_cndmask_b32_e64 v8, v14, v2, s[8:9]
	v_cndmask_b32_e64 v9, v2, v14, s[8:9]
	v_max_i32_e32 v10, v8, v9
	v_mov_b32_e32 v2, 0
	v_mov_b32_e32 v4, 0
	;; [unrolled: 1-line block ×6, first 2 shown]
	v_cmp_gt_i32_e64 s[8:9], s45, v10
	s_and_saveexec_b64 s[12:13], s[8:9]
	s_cbranch_execz .LBB19_9
; %bb.8:                                ;   in Loop: Header=BB19_7 Depth=2
	v_ashrrev_i32_e32 v6, 31, v9
	v_mul_lo_u32 v7, s19, v9
	v_mad_u64_u32 v[4:5], s[8:9], s18, v9, 0
	v_mul_lo_u32 v6, s18, v6
	v_ashrrev_i32_e32 v9, 31, v8
	v_add3_u32 v5, v5, v6, v7
	v_lshlrev_b64 v[4:5], 4, v[4:5]
	v_mov_b32_e32 v6, s15
	v_add_co_u32_e64 v7, s[8:9], s14, v4
	v_addc_co_u32_e64 v6, s[8:9], v6, v5, s[8:9]
	v_lshlrev_b64 v[4:5], 4, v[8:9]
	v_add_co_u32_e64 v4, s[8:9], v7, v4
	v_addc_co_u32_e64 v5, s[8:9], v6, v5, s[8:9]
	global_load_dwordx4 v[4:7], v[4:5], off
.LBB19_9:                               ;   in Loop: Header=BB19_7 Depth=2
	s_or_b64 exec, exec, s[12:13]
	s_waitcnt vmcnt(0)
	ds_write_b128 v30, v[4:7]
	v_add_u32_e32 v6, s6, v0
	v_cmp_gt_i32_e64 s[8:9], s45, v6
	v_mov_b32_e32 v4, 0
	v_mov_b32_e32 v5, 0
	s_and_b64 s[8:9], s[8:9], vcc
	s_and_saveexec_b64 s[12:13], s[8:9]
	s_cbranch_execz .LBB19_11
; %bb.10:                               ;   in Loop: Header=BB19_7 Depth=2
	v_ashrrev_i32_e32 v7, 31, v6
	v_lshlrev_b64 v[2:3], 4, v[6:7]
	v_add_co_u32_e64 v2, s[8:9], v35, v2
	v_addc_co_u32_e64 v3, s[8:9], v36, v3, s[8:9]
	global_load_dwordx4 v[2:5], v[2:3], off
.LBB19_11:                              ;   in Loop: Header=BB19_7 Depth=2
	s_or_b64 exec, exec, s[12:13]
	s_waitcnt vmcnt(0)
	ds_write_b128 v32, v[2:5]
	s_waitcnt lgkmcnt(0)
	s_barrier
	s_and_saveexec_b64 s[8:9], s[10:11]
	s_cbranch_execz .LBB19_6
; %bb.12:                               ;   in Loop: Header=BB19_7 Depth=2
	ds_read_b128 v[2:5], v31
	ds_read_b128 v[6:9], v29
	ds_read_b128 v[10:13], v29 offset:16
	ds_read_b128 v[17:20], v31 offset:512
	;; [unrolled: 1-line block ×3, first 2 shown]
	s_waitcnt lgkmcnt(3)
	v_mul_f64 v[25:26], v[4:5], v[8:9]
	v_mul_f64 v[8:9], v[2:3], v[8:9]
	s_waitcnt lgkmcnt(1)
	v_mul_f64 v[37:38], v[19:20], v[12:13]
	v_mul_f64 v[12:13], v[17:18], v[12:13]
	v_fma_f64 v[39:40], v[2:3], v[6:7], -v[25:26]
	v_fma_f64 v[41:42], v[4:5], v[6:7], v[8:9]
	ds_read_b128 v[2:5], v29 offset:32
	ds_read_b128 v[6:9], v29 offset:48
	ds_read_b128 v[25:28], v31 offset:1536
	v_fma_f64 v[17:18], v[17:18], v[10:11], -v[37:38]
	v_fma_f64 v[10:11], v[19:20], v[10:11], v[12:13]
	s_waitcnt lgkmcnt(2)
	v_mul_f64 v[12:13], v[23:24], v[4:5]
	v_mul_f64 v[4:5], v[21:22], v[4:5]
	v_add_f64 v[19:20], v[39:40], 0
	v_add_f64 v[37:38], v[41:42], 0
	s_waitcnt lgkmcnt(0)
	v_mul_f64 v[39:40], v[27:28], v[8:9]
	v_mul_f64 v[41:42], v[25:26], v[8:9]
	v_fma_f64 v[12:13], v[21:22], v[2:3], -v[12:13]
	v_fma_f64 v[43:44], v[23:24], v[2:3], v[4:5]
	ds_read_b128 v[2:5], v29 offset:64
	v_add_f64 v[45:46], v[19:20], v[17:18]
	v_add_f64 v[37:38], v[37:38], v[10:11]
	ds_read_b128 v[8:11], v31 offset:2048
	ds_read_b128 v[17:20], v31 offset:2560
	v_fma_f64 v[25:26], v[25:26], v[6:7], -v[39:40]
	v_fma_f64 v[6:7], v[27:28], v[6:7], v[41:42]
	ds_read_b128 v[21:24], v29 offset:80
	s_waitcnt lgkmcnt(2)
	v_mul_f64 v[27:28], v[10:11], v[4:5]
	v_mul_f64 v[4:5], v[8:9], v[4:5]
	v_add_f64 v[12:13], v[45:46], v[12:13]
	v_add_f64 v[37:38], v[37:38], v[43:44]
	v_fma_f64 v[27:28], v[8:9], v[2:3], -v[27:28]
	v_fma_f64 v[41:42], v[10:11], v[2:3], v[4:5]
	ds_read_b128 v[2:5], v29 offset:96
	s_waitcnt lgkmcnt(1)
	v_mul_f64 v[39:40], v[19:20], v[23:24]
	v_mul_f64 v[23:24], v[17:18], v[23:24]
	v_add_f64 v[25:26], v[12:13], v[25:26]
	v_add_f64 v[37:38], v[37:38], v[6:7]
	ds_read_b128 v[6:9], v31 offset:3072
	ds_read_b128 v[10:13], v31 offset:3584
	v_fma_f64 v[39:40], v[17:18], v[21:22], -v[39:40]
	v_fma_f64 v[21:22], v[19:20], v[21:22], v[23:24]
	s_waitcnt lgkmcnt(1)
	v_mul_f64 v[23:24], v[8:9], v[4:5]
	v_mul_f64 v[4:5], v[6:7], v[4:5]
	v_add_f64 v[25:26], v[25:26], v[27:28]
	v_add_f64 v[27:28], v[37:38], v[41:42]
	ds_read_b128 v[17:20], v29 offset:112
	v_fma_f64 v[23:24], v[6:7], v[2:3], -v[23:24]
	v_fma_f64 v[43:44], v[8:9], v[2:3], v[4:5]
	ds_read_b128 v[2:5], v29 offset:128
	s_waitcnt lgkmcnt(1)
	v_mul_f64 v[37:38], v[12:13], v[19:20]
	v_mul_f64 v[41:42], v[10:11], v[19:20]
	v_add_f64 v[25:26], v[25:26], v[39:40]
	v_add_f64 v[27:28], v[27:28], v[21:22]
	ds_read_b128 v[6:9], v31 offset:4096
	ds_read_b128 v[19:22], v31 offset:4608
	s_waitcnt lgkmcnt(1)
	v_mul_f64 v[39:40], v[8:9], v[4:5]
	v_mul_f64 v[4:5], v[6:7], v[4:5]
	v_fma_f64 v[37:38], v[10:11], v[17:18], -v[37:38]
	v_fma_f64 v[17:18], v[12:13], v[17:18], v[41:42]
	ds_read_b128 v[10:13], v29 offset:144
	v_add_f64 v[23:24], v[25:26], v[23:24]
	v_add_f64 v[25:26], v[27:28], v[43:44]
	v_fma_f64 v[39:40], v[6:7], v[2:3], -v[39:40]
	v_fma_f64 v[41:42], v[8:9], v[2:3], v[4:5]
	ds_read_b128 v[2:5], v29 offset:160
	s_waitcnt lgkmcnt(1)
	v_mul_f64 v[27:28], v[21:22], v[12:13]
	v_mul_f64 v[12:13], v[19:20], v[12:13]
	v_add_f64 v[37:38], v[23:24], v[37:38]
	v_add_f64 v[17:18], v[25:26], v[17:18]
	ds_read_b128 v[6:9], v31 offset:5120
	ds_read_b128 v[23:26], v31 offset:5632
	v_fma_f64 v[19:20], v[19:20], v[10:11], -v[27:28]
	s_waitcnt lgkmcnt(1)
	v_mul_f64 v[27:28], v[8:9], v[4:5]
	v_mul_f64 v[4:5], v[6:7], v[4:5]
	v_fma_f64 v[21:22], v[21:22], v[10:11], v[12:13]
	ds_read_b128 v[10:13], v29 offset:176
	v_add_f64 v[37:38], v[37:38], v[39:40]
	v_add_f64 v[17:18], v[17:18], v[41:42]
	v_fma_f64 v[27:28], v[6:7], v[2:3], -v[27:28]
	v_fma_f64 v[41:42], v[8:9], v[2:3], v[4:5]
	ds_read_b128 v[2:5], v29 offset:192
	s_waitcnt lgkmcnt(1)
	v_mul_f64 v[39:40], v[25:26], v[12:13]
	v_mul_f64 v[12:13], v[23:24], v[12:13]
	v_add_f64 v[37:38], v[37:38], v[19:20]
	v_add_f64 v[21:22], v[17:18], v[21:22]
	ds_read_b128 v[6:9], v31 offset:6144
	ds_read_b128 v[17:20], v31 offset:6656
	v_fma_f64 v[23:24], v[23:24], v[10:11], -v[39:40]
	s_waitcnt lgkmcnt(1)
	v_mul_f64 v[39:40], v[8:9], v[4:5]
	v_mul_f64 v[4:5], v[6:7], v[4:5]
	;; [unrolled: 18-line block ×8, first 2 shown]
	v_fma_f64 v[23:24], v[23:24], v[10:11], v[12:13]
	ds_read_b128 v[10:13], v29 offset:400
	v_add_f64 v[27:28], v[27:28], v[37:38]
	v_add_f64 v[25:26], v[25:26], v[41:42]
	v_fma_f64 v[43:44], v[6:7], v[2:3], -v[39:40]
	v_fma_f64 v[45:46], v[8:9], v[2:3], v[4:5]
	ds_read_b128 v[2:5], v29 offset:416
	s_waitcnt lgkmcnt(1)
	v_mul_f64 v[41:42], v[19:20], v[12:13]
	v_mul_f64 v[12:13], v[17:18], v[12:13]
	ds_read_b128 v[6:9], v31 offset:13312
	ds_read_b128 v[37:40], v31 offset:13824
	v_add_f64 v[21:22], v[27:28], v[21:22]
	v_add_f64 v[23:24], v[25:26], v[23:24]
	ds_read_b128 v[25:28], v29 offset:432
	v_fma_f64 v[41:42], v[17:18], v[10:11], -v[41:42]
	v_fma_f64 v[10:11], v[19:20], v[10:11], v[12:13]
	s_waitcnt lgkmcnt(2)
	v_mul_f64 v[12:13], v[8:9], v[4:5]
	v_mul_f64 v[4:5], v[6:7], v[4:5]
	v_add_f64 v[21:22], v[21:22], v[43:44]
	v_add_f64 v[43:44], v[23:24], v[45:46]
	v_fma_f64 v[19:20], v[6:7], v[2:3], -v[12:13]
	v_fma_f64 v[17:18], v[8:9], v[2:3], v[4:5]
	ds_read_b128 v[2:5], v29 offset:448
	s_waitcnt lgkmcnt(1)
	v_mul_f64 v[45:46], v[39:40], v[27:28]
	v_mul_f64 v[47:48], v[37:38], v[27:28]
	v_add_f64 v[23:24], v[21:22], v[41:42]
	v_add_f64 v[21:22], v[43:44], v[10:11]
	ds_read_b128 v[6:9], v31 offset:14336
	ds_read_b128 v[10:13], v31 offset:14848
	;; [unrolled: 1-line block ×3, first 2 shown]
	v_fma_f64 v[27:28], v[37:38], v[25:26], -v[45:46]
	v_fma_f64 v[25:26], v[39:40], v[25:26], v[47:48]
	global_load_dwordx4 v[37:40], v[15:16], off
	v_add_f64 v[19:20], v[23:24], v[19:20]
	s_waitcnt lgkmcnt(2)
	v_mul_f64 v[23:24], v[8:9], v[4:5]
	v_add_f64 v[17:18], v[21:22], v[17:18]
	v_mul_f64 v[4:5], v[6:7], v[4:5]
	v_add_f64 v[27:28], v[19:20], v[27:28]
	v_fma_f64 v[21:22], v[6:7], v[2:3], -v[23:24]
	v_add_f64 v[25:26], v[17:18], v[25:26]
	v_fma_f64 v[23:24], v[8:9], v[2:3], v[4:5]
	ds_read_b128 v[6:9], v29 offset:480
	s_waitcnt lgkmcnt(1)
	v_mul_f64 v[45:46], v[12:13], v[43:44]
	v_mul_f64 v[43:44], v[10:11], v[43:44]
	ds_read_b128 v[2:5], v31 offset:15360
	v_add_f64 v[21:22], v[27:28], v[21:22]
	v_add_f64 v[23:24], v[25:26], v[23:24]
	s_waitcnt lgkmcnt(0)
	v_mul_f64 v[27:28], v[4:5], v[8:9]
	v_fma_f64 v[45:46], v[10:11], v[41:42], -v[45:46]
	v_fma_f64 v[41:42], v[12:13], v[41:42], v[43:44]
	v_mul_f64 v[8:9], v[2:3], v[8:9]
	ds_read_b128 v[10:13], v31 offset:15872
	ds_read_b128 v[17:20], v29 offset:496
	v_fma_f64 v[2:3], v[2:3], v[6:7], -v[27:28]
	v_add_f64 v[21:22], v[21:22], v[45:46]
	v_fma_f64 v[4:5], v[4:5], v[6:7], v[8:9]
	s_waitcnt lgkmcnt(0)
	v_mul_f64 v[6:7], v[12:13], v[19:20]
	v_mul_f64 v[8:9], v[10:11], v[19:20]
	v_add_f64 v[19:20], v[23:24], v[41:42]
	v_add_f64 v[2:3], v[21:22], v[2:3]
	v_fma_f64 v[6:7], v[10:11], v[17:18], -v[6:7]
	v_fma_f64 v[8:9], v[12:13], v[17:18], v[8:9]
	v_add_f64 v[4:5], v[19:20], v[4:5]
	v_add_f64 v[2:3], v[2:3], v[6:7]
	;; [unrolled: 1-line block ×3, first 2 shown]
	v_mul_f64 v[8:9], s[30:31], v[2:3]
	v_mul_f64 v[6:7], s[30:31], v[4:5]
	v_fma_f64 v[4:5], s[28:29], v[4:5], v[8:9]
	v_fma_f64 v[2:3], s[28:29], v[2:3], -v[6:7]
	s_waitcnt vmcnt(0)
	v_add_f64 v[2:3], v[37:38], v[2:3]
	v_add_f64 v[4:5], v[39:40], v[4:5]
	global_store_dwordx4 v[15:16], v[2:5], off
	s_branch .LBB19_6
.LBB19_13:
	s_endpgm
	.section	.rodata,"a",@progbits
	.p2align	6, 0x0
	.amdhsa_kernel _ZL24rocblas_symm_hemm_kernelILb0ELb0ELi32EPK19rocblas_complex_numIdES3_PS1_EvbiiT2_T3_lllS6_lllT4_llli
		.amdhsa_group_segment_fixed_size 32768
		.amdhsa_private_segment_fixed_size 0
		.amdhsa_kernarg_size 384
		.amdhsa_user_sgpr_count 6
		.amdhsa_user_sgpr_private_segment_buffer 1
		.amdhsa_user_sgpr_dispatch_ptr 0
		.amdhsa_user_sgpr_queue_ptr 0
		.amdhsa_user_sgpr_kernarg_segment_ptr 1
		.amdhsa_user_sgpr_dispatch_id 0
		.amdhsa_user_sgpr_flat_scratch_init 0
		.amdhsa_user_sgpr_private_segment_size 0
		.amdhsa_uses_dynamic_stack 0
		.amdhsa_system_sgpr_private_segment_wavefront_offset 0
		.amdhsa_system_sgpr_workgroup_id_x 1
		.amdhsa_system_sgpr_workgroup_id_y 1
		.amdhsa_system_sgpr_workgroup_id_z 1
		.amdhsa_system_sgpr_workgroup_info 0
		.amdhsa_system_vgpr_workitem_id 1
		.amdhsa_next_free_vgpr 49
		.amdhsa_next_free_sgpr 61
		.amdhsa_reserve_vcc 1
		.amdhsa_reserve_flat_scratch 0
		.amdhsa_float_round_mode_32 0
		.amdhsa_float_round_mode_16_64 0
		.amdhsa_float_denorm_mode_32 3
		.amdhsa_float_denorm_mode_16_64 3
		.amdhsa_dx10_clamp 1
		.amdhsa_ieee_mode 1
		.amdhsa_fp16_overflow 0
		.amdhsa_exception_fp_ieee_invalid_op 0
		.amdhsa_exception_fp_denorm_src 0
		.amdhsa_exception_fp_ieee_div_zero 0
		.amdhsa_exception_fp_ieee_overflow 0
		.amdhsa_exception_fp_ieee_underflow 0
		.amdhsa_exception_fp_ieee_inexact 0
		.amdhsa_exception_int_div_zero 0
	.end_amdhsa_kernel
	.section	.text._ZL24rocblas_symm_hemm_kernelILb0ELb0ELi32EPK19rocblas_complex_numIdES3_PS1_EvbiiT2_T3_lllS6_lllT4_llli,"axG",@progbits,_ZL24rocblas_symm_hemm_kernelILb0ELb0ELi32EPK19rocblas_complex_numIdES3_PS1_EvbiiT2_T3_lllS6_lllT4_llli,comdat
.Lfunc_end19:
	.size	_ZL24rocblas_symm_hemm_kernelILb0ELb0ELi32EPK19rocblas_complex_numIdES3_PS1_EvbiiT2_T3_lllS6_lllT4_llli, .Lfunc_end19-_ZL24rocblas_symm_hemm_kernelILb0ELb0ELi32EPK19rocblas_complex_numIdES3_PS1_EvbiiT2_T3_lllS6_lllT4_llli
                                        ; -- End function
	.set _ZL24rocblas_symm_hemm_kernelILb0ELb0ELi32EPK19rocblas_complex_numIdES3_PS1_EvbiiT2_T3_lllS6_lllT4_llli.num_vgpr, 49
	.set _ZL24rocblas_symm_hemm_kernelILb0ELb0ELi32EPK19rocblas_complex_numIdES3_PS1_EvbiiT2_T3_lllS6_lllT4_llli.num_agpr, 0
	.set _ZL24rocblas_symm_hemm_kernelILb0ELb0ELi32EPK19rocblas_complex_numIdES3_PS1_EvbiiT2_T3_lllS6_lllT4_llli.numbered_sgpr, 48
	.set _ZL24rocblas_symm_hemm_kernelILb0ELb0ELi32EPK19rocblas_complex_numIdES3_PS1_EvbiiT2_T3_lllS6_lllT4_llli.num_named_barrier, 0
	.set _ZL24rocblas_symm_hemm_kernelILb0ELb0ELi32EPK19rocblas_complex_numIdES3_PS1_EvbiiT2_T3_lllS6_lllT4_llli.private_seg_size, 0
	.set _ZL24rocblas_symm_hemm_kernelILb0ELb0ELi32EPK19rocblas_complex_numIdES3_PS1_EvbiiT2_T3_lllS6_lllT4_llli.uses_vcc, 1
	.set _ZL24rocblas_symm_hemm_kernelILb0ELb0ELi32EPK19rocblas_complex_numIdES3_PS1_EvbiiT2_T3_lllS6_lllT4_llli.uses_flat_scratch, 0
	.set _ZL24rocblas_symm_hemm_kernelILb0ELb0ELi32EPK19rocblas_complex_numIdES3_PS1_EvbiiT2_T3_lllS6_lllT4_llli.has_dyn_sized_stack, 0
	.set _ZL24rocblas_symm_hemm_kernelILb0ELb0ELi32EPK19rocblas_complex_numIdES3_PS1_EvbiiT2_T3_lllS6_lllT4_llli.has_recursion, 0
	.set _ZL24rocblas_symm_hemm_kernelILb0ELb0ELi32EPK19rocblas_complex_numIdES3_PS1_EvbiiT2_T3_lllS6_lllT4_llli.has_indirect_call, 0
	.section	.AMDGPU.csdata,"",@progbits
; Kernel info:
; codeLenInByte = 3088
; TotalNumSgprs: 52
; NumVgprs: 49
; ScratchSize: 0
; MemoryBound: 1
; FloatMode: 240
; IeeeMode: 1
; LDSByteSize: 32768 bytes/workgroup (compile time only)
; SGPRBlocks: 8
; VGPRBlocks: 12
; NumSGPRsForWavesPerEU: 65
; NumVGPRsForWavesPerEU: 49
; Occupancy: 4
; WaveLimiterHint : 0
; COMPUTE_PGM_RSRC2:SCRATCH_EN: 0
; COMPUTE_PGM_RSRC2:USER_SGPR: 6
; COMPUTE_PGM_RSRC2:TRAP_HANDLER: 0
; COMPUTE_PGM_RSRC2:TGID_X_EN: 1
; COMPUTE_PGM_RSRC2:TGID_Y_EN: 1
; COMPUTE_PGM_RSRC2:TGID_Z_EN: 1
; COMPUTE_PGM_RSRC2:TIDIG_COMP_CNT: 1
	.section	.text._ZL24rocblas_symm_hemm_kernelILb0ELb1ELi32EPK19rocblas_complex_numIdES3_PS1_EvbiiT2_T3_lllS6_lllT4_llli,"axG",@progbits,_ZL24rocblas_symm_hemm_kernelILb0ELb1ELi32EPK19rocblas_complex_numIdES3_PS1_EvbiiT2_T3_lllS6_lllT4_llli,comdat
	.globl	_ZL24rocblas_symm_hemm_kernelILb0ELb1ELi32EPK19rocblas_complex_numIdES3_PS1_EvbiiT2_T3_lllS6_lllT4_llli ; -- Begin function _ZL24rocblas_symm_hemm_kernelILb0ELb1ELi32EPK19rocblas_complex_numIdES3_PS1_EvbiiT2_T3_lllS6_lllT4_llli
	.p2align	8
	.type	_ZL24rocblas_symm_hemm_kernelILb0ELb1ELi32EPK19rocblas_complex_numIdES3_PS1_EvbiiT2_T3_lllS6_lllT4_llli,@function
_ZL24rocblas_symm_hemm_kernelILb0ELb1ELi32EPK19rocblas_complex_numIdES3_PS1_EvbiiT2_T3_lllS6_lllT4_llli: ; @_ZL24rocblas_symm_hemm_kernelILb0ELb1ELi32EPK19rocblas_complex_numIdES3_PS1_EvbiiT2_T3_lllS6_lllT4_llli
; %bb.0:
	s_load_dwordx16 s[12:27], s[4:5], 0x10
	s_waitcnt lgkmcnt(0)
	s_load_dwordx4 s[28:31], s[12:13], 0x0
	s_waitcnt lgkmcnt(0)
	v_cmp_eq_f64_e64 s[0:1], s[28:29], 0
	v_cmp_eq_f64_e64 s[2:3], s[30:31], 0
	s_and_b64 s[0:1], s[0:1], s[2:3]
	s_and_b64 vcc, exec, s[0:1]
	s_cbranch_vccnz .LBB20_13
; %bb.1:
	s_load_dwordx4 s[44:47], s[4:5], 0x0
	s_waitcnt lgkmcnt(0)
	s_add_i32 s0, s46, -1
	s_ashr_i32 s1, s0, 31
	s_lshr_b32 s1, s1, 27
	s_add_i32 s0, s0, s1
	s_ashr_i32 s12, s0, 5
	s_cmp_gt_i32 s7, s12
	s_cbranch_scc1 .LBB20_13
; %bb.2:
	s_mul_i32 s0, s21, s8
	s_mul_hi_u32 s1, s20, s8
	s_add_i32 s1, s1, s0
	s_mul_i32 s0, s20, s8
	s_lshl_b64 s[0:1], s[0:1], 4
	s_add_u32 s2, s14, s0
	s_addc_u32 s3, s15, s1
	s_lshl_b64 s[0:1], s[16:17], 4
	s_add_u32 s13, s2, s0
	s_addc_u32 s14, s3, s1
	s_load_dwordx2 s[2:3], s[4:5], 0x70
	s_load_dwordx8 s[36:43], s[4:5], 0x50
	s_load_dword s15, s[4:5], 0x84
	s_bitcmp1_b32 s44, 0
	s_cselect_b64 s[0:1], -1, 0
	v_lshl_add_u32 v2, s6, 5, v0
	s_waitcnt lgkmcnt(0)
	s_mul_i32 s3, s3, s8
	s_mul_hi_u32 s4, s2, s8
	s_add_i32 s3, s4, s3
	s_mul_i32 s2, s2, s8
	s_lshl_b64 s[2:3], s[2:3], 4
	s_add_u32 s4, s38, s2
	s_addc_u32 s5, s39, s3
	s_lshl_b64 s[2:3], s[40:41], 4
	s_add_u32 s4, s4, s2
	s_addc_u32 s5, s5, s3
	s_mul_i32 s2, s37, s8
	s_mul_hi_u32 s3, s36, s8
	s_add_i32 s3, s3, s2
	s_mul_i32 s2, s36, s8
	s_lshl_b64 s[2:3], s[2:3], 4
	s_add_u32 s8, s22, s2
	s_addc_u32 s9, s23, s3
	s_lshl_b64 s[2:3], s[24:25], 4
	s_add_u32 s8, s8, s2
	v_ashrrev_i32_e32 v3, 31, v2
	s_addc_u32 s9, s9, s3
	v_cmp_gt_i32_e64 s[2:3], s45, v2
	v_lshlrev_b64 v[2:3], 4, v[2:3]
	v_mov_b32_e32 v4, s9
	v_add_co_u32_e32 v28, vcc, s8, v2
	s_cmp_gt_i32 s46, 0
	v_addc_co_u32_e32 v29, vcc, v4, v3, vcc
	v_lshlrev_b32_e32 v30, 9, v0
	v_lshlrev_b32_e32 v4, 4, v1
	v_add_u32_e32 v31, v30, v4
	v_or_b32_e32 v32, 0x4000, v4
	v_mov_b32_e32 v4, s5
	v_add_co_u32_e32 v34, vcc, s4, v2
	s_cselect_b64 s[4:5], -1, 0
	v_cndmask_b32_e64 v2, 0, 1, s[4:5]
	v_add_u32_e32 v33, v32, v30
	v_addc_co_u32_e32 v35, vcc, v4, v3, vcc
	v_cmp_ne_u32_e64 s[4:5], 1, v2
	s_branch .LBB20_4
.LBB20_3:                               ;   in Loop: Header=BB20_4 Depth=1
	s_add_i32 s7, s7, s15
	s_cmp_gt_i32 s7, s12
	s_cbranch_scc1 .LBB20_13
.LBB20_4:                               ; =>This Loop Header: Depth=1
                                        ;     Child Loop BB20_7 Depth 2
	s_and_b64 vcc, exec, s[4:5]
	s_cbranch_vccnz .LBB20_3
; %bb.5:                                ;   in Loop: Header=BB20_4 Depth=1
	v_lshl_add_u32 v36, s7, 5, v1
	v_ashrrev_i32_e32 v2, 31, v36
	v_mul_lo_u32 v4, s42, v2
	v_mul_lo_u32 v5, s43, v36
	v_mad_u64_u32 v[2:3], s[8:9], s42, v36, 0
	v_cmp_gt_i32_e32 vcc, s46, v36
	s_and_b64 s[8:9], s[2:3], vcc
	v_add3_u32 v3, v3, v4, v5
	v_lshlrev_b64 v[2:3], 4, v[2:3]
	s_mov_b32 s6, 0
	v_add_co_u32_e32 v14, vcc, v34, v2
	v_addc_co_u32_e32 v15, vcc, v35, v3, vcc
	s_branch .LBB20_7
.LBB20_6:                               ;   in Loop: Header=BB20_7 Depth=2
	s_or_b64 exec, exec, s[10:11]
	s_add_i32 s6, s6, 32
	s_cmp_ge_i32 s6, s46
	s_waitcnt vmcnt(0)
	s_barrier
	s_cbranch_scc1 .LBB20_3
.LBB20_7:                               ;   Parent Loop BB20_4 Depth=1
                                        ; =>  This Inner Loop Header: Depth=2
	v_add_u32_e32 v8, s6, v1
	v_cmp_gt_i32_e32 vcc, s46, v8
	v_mov_b32_e32 v2, 0
	v_mov_b32_e32 v4, 0
	;; [unrolled: 1-line block ×6, first 2 shown]
	s_and_b64 s[16:17], s[2:3], vcc
	s_and_saveexec_b64 s[10:11], s[16:17]
	s_cbranch_execz .LBB20_9
; %bb.8:                                ;   in Loop: Header=BB20_7 Depth=2
	v_ashrrev_i32_e32 v6, 31, v8
	v_mul_lo_u32 v7, s27, v8
	v_mad_u64_u32 v[4:5], s[16:17], s26, v8, 0
	v_mul_lo_u32 v6, s26, v6
	v_add3_u32 v5, v5, v6, v7
	v_lshlrev_b64 v[4:5], 4, v[4:5]
	v_add_co_u32_e32 v4, vcc, v28, v4
	v_addc_co_u32_e32 v5, vcc, v29, v5, vcc
	global_load_dwordx4 v[4:7], v[4:5], off
.LBB20_9:                               ;   in Loop: Header=BB20_7 Depth=2
	s_or_b64 exec, exec, s[10:11]
	s_waitcnt vmcnt(0)
	ds_write_b128 v31, v[4:7]
	v_add_u32_e32 v4, s6, v0
	v_cndmask_b32_e64 v5, v36, v4, s[0:1]
	v_cndmask_b32_e64 v6, v4, v36, s[0:1]
	v_cmp_gt_i32_e32 vcc, v5, v6
	v_cndmask_b32_e32 v6, v4, v36, vcc
	v_cndmask_b32_e32 v7, v36, v4, vcc
	v_max_i32_e32 v8, v6, v7
	v_mov_b32_e32 v4, 0
	v_mov_b32_e32 v5, 0
	v_cmp_gt_i32_e32 vcc, s46, v8
	s_and_saveexec_b64 s[10:11], vcc
	s_cbranch_execz .LBB20_11
; %bb.10:                               ;   in Loop: Header=BB20_7 Depth=2
	v_ashrrev_i32_e32 v4, 31, v7
	v_mul_lo_u32 v5, s19, v7
	v_mad_u64_u32 v[2:3], s[16:17], s18, v7, 0
	v_mul_lo_u32 v4, s18, v4
	v_ashrrev_i32_e32 v7, 31, v6
	v_add3_u32 v3, v3, v4, v5
	v_lshlrev_b64 v[2:3], 4, v[2:3]
	v_mov_b32_e32 v4, s14
	v_add_co_u32_e32 v5, vcc, s13, v2
	v_addc_co_u32_e32 v4, vcc, v4, v3, vcc
	v_lshlrev_b64 v[2:3], 4, v[6:7]
	v_add_co_u32_e32 v2, vcc, v5, v2
	v_addc_co_u32_e32 v3, vcc, v4, v3, vcc
	global_load_dwordx4 v[2:5], v[2:3], off
.LBB20_11:                              ;   in Loop: Header=BB20_7 Depth=2
	s_or_b64 exec, exec, s[10:11]
	s_waitcnt vmcnt(0)
	ds_write_b128 v33, v[2:5]
	s_waitcnt lgkmcnt(0)
	s_barrier
	s_and_saveexec_b64 s[10:11], s[8:9]
	s_cbranch_execz .LBB20_6
; %bb.12:                               ;   in Loop: Header=BB20_7 Depth=2
	ds_read_b128 v[2:5], v32
	ds_read_b128 v[6:9], v30
	ds_read_b128 v[10:13], v30 offset:16
	ds_read_b128 v[16:19], v32 offset:512
	;; [unrolled: 1-line block ×3, first 2 shown]
	s_waitcnt lgkmcnt(3)
	v_mul_f64 v[24:25], v[4:5], v[8:9]
	v_mul_f64 v[8:9], v[2:3], v[8:9]
	s_waitcnt lgkmcnt(1)
	v_mul_f64 v[37:38], v[18:19], v[12:13]
	v_mul_f64 v[12:13], v[16:17], v[12:13]
	v_fma_f64 v[39:40], v[2:3], v[6:7], -v[24:25]
	v_fma_f64 v[41:42], v[4:5], v[6:7], v[8:9]
	ds_read_b128 v[2:5], v30 offset:32
	ds_read_b128 v[6:9], v30 offset:48
	;; [unrolled: 1-line block ×3, first 2 shown]
	v_fma_f64 v[16:17], v[16:17], v[10:11], -v[37:38]
	v_fma_f64 v[10:11], v[18:19], v[10:11], v[12:13]
	s_waitcnt lgkmcnt(2)
	v_mul_f64 v[12:13], v[22:23], v[4:5]
	v_mul_f64 v[4:5], v[20:21], v[4:5]
	v_add_f64 v[18:19], v[39:40], 0
	v_add_f64 v[37:38], v[41:42], 0
	s_waitcnt lgkmcnt(0)
	v_mul_f64 v[39:40], v[26:27], v[8:9]
	v_mul_f64 v[41:42], v[24:25], v[8:9]
	v_fma_f64 v[12:13], v[20:21], v[2:3], -v[12:13]
	v_fma_f64 v[43:44], v[22:23], v[2:3], v[4:5]
	ds_read_b128 v[2:5], v30 offset:64
	v_add_f64 v[45:46], v[18:19], v[16:17]
	v_add_f64 v[37:38], v[37:38], v[10:11]
	ds_read_b128 v[8:11], v32 offset:2048
	ds_read_b128 v[16:19], v32 offset:2560
	v_fma_f64 v[24:25], v[24:25], v[6:7], -v[39:40]
	v_fma_f64 v[6:7], v[26:27], v[6:7], v[41:42]
	ds_read_b128 v[20:23], v30 offset:80
	s_waitcnt lgkmcnt(2)
	v_mul_f64 v[26:27], v[10:11], v[4:5]
	v_mul_f64 v[4:5], v[8:9], v[4:5]
	v_add_f64 v[12:13], v[45:46], v[12:13]
	v_add_f64 v[37:38], v[37:38], v[43:44]
	v_fma_f64 v[26:27], v[8:9], v[2:3], -v[26:27]
	v_fma_f64 v[41:42], v[10:11], v[2:3], v[4:5]
	ds_read_b128 v[2:5], v30 offset:96
	s_waitcnt lgkmcnt(1)
	v_mul_f64 v[39:40], v[18:19], v[22:23]
	v_mul_f64 v[22:23], v[16:17], v[22:23]
	v_add_f64 v[24:25], v[12:13], v[24:25]
	v_add_f64 v[37:38], v[37:38], v[6:7]
	ds_read_b128 v[6:9], v32 offset:3072
	ds_read_b128 v[10:13], v32 offset:3584
	v_fma_f64 v[39:40], v[16:17], v[20:21], -v[39:40]
	v_fma_f64 v[20:21], v[18:19], v[20:21], v[22:23]
	s_waitcnt lgkmcnt(1)
	v_mul_f64 v[22:23], v[8:9], v[4:5]
	v_mul_f64 v[4:5], v[6:7], v[4:5]
	v_add_f64 v[24:25], v[24:25], v[26:27]
	v_add_f64 v[26:27], v[37:38], v[41:42]
	ds_read_b128 v[16:19], v30 offset:112
	v_fma_f64 v[22:23], v[6:7], v[2:3], -v[22:23]
	v_fma_f64 v[43:44], v[8:9], v[2:3], v[4:5]
	ds_read_b128 v[2:5], v30 offset:128
	s_waitcnt lgkmcnt(1)
	v_mul_f64 v[37:38], v[12:13], v[18:19]
	v_mul_f64 v[41:42], v[10:11], v[18:19]
	v_add_f64 v[24:25], v[24:25], v[39:40]
	v_add_f64 v[26:27], v[26:27], v[20:21]
	ds_read_b128 v[6:9], v32 offset:4096
	ds_read_b128 v[18:21], v32 offset:4608
	s_waitcnt lgkmcnt(1)
	v_mul_f64 v[39:40], v[8:9], v[4:5]
	v_mul_f64 v[4:5], v[6:7], v[4:5]
	v_fma_f64 v[37:38], v[10:11], v[16:17], -v[37:38]
	v_fma_f64 v[16:17], v[12:13], v[16:17], v[41:42]
	ds_read_b128 v[10:13], v30 offset:144
	v_add_f64 v[22:23], v[24:25], v[22:23]
	v_add_f64 v[24:25], v[26:27], v[43:44]
	v_fma_f64 v[39:40], v[6:7], v[2:3], -v[39:40]
	v_fma_f64 v[41:42], v[8:9], v[2:3], v[4:5]
	ds_read_b128 v[2:5], v30 offset:160
	s_waitcnt lgkmcnt(1)
	v_mul_f64 v[26:27], v[20:21], v[12:13]
	v_mul_f64 v[12:13], v[18:19], v[12:13]
	v_add_f64 v[37:38], v[22:23], v[37:38]
	v_add_f64 v[16:17], v[24:25], v[16:17]
	ds_read_b128 v[6:9], v32 offset:5120
	ds_read_b128 v[22:25], v32 offset:5632
	v_fma_f64 v[18:19], v[18:19], v[10:11], -v[26:27]
	s_waitcnt lgkmcnt(1)
	v_mul_f64 v[26:27], v[8:9], v[4:5]
	v_mul_f64 v[4:5], v[6:7], v[4:5]
	v_fma_f64 v[20:21], v[20:21], v[10:11], v[12:13]
	ds_read_b128 v[10:13], v30 offset:176
	v_add_f64 v[37:38], v[37:38], v[39:40]
	v_add_f64 v[16:17], v[16:17], v[41:42]
	v_fma_f64 v[26:27], v[6:7], v[2:3], -v[26:27]
	v_fma_f64 v[41:42], v[8:9], v[2:3], v[4:5]
	ds_read_b128 v[2:5], v30 offset:192
	s_waitcnt lgkmcnt(1)
	v_mul_f64 v[39:40], v[24:25], v[12:13]
	v_mul_f64 v[12:13], v[22:23], v[12:13]
	v_add_f64 v[37:38], v[37:38], v[18:19]
	v_add_f64 v[20:21], v[16:17], v[20:21]
	ds_read_b128 v[6:9], v32 offset:6144
	ds_read_b128 v[16:19], v32 offset:6656
	v_fma_f64 v[22:23], v[22:23], v[10:11], -v[39:40]
	s_waitcnt lgkmcnt(1)
	v_mul_f64 v[39:40], v[8:9], v[4:5]
	v_mul_f64 v[4:5], v[6:7], v[4:5]
	;; [unrolled: 18-line block ×8, first 2 shown]
	v_fma_f64 v[22:23], v[22:23], v[10:11], v[12:13]
	ds_read_b128 v[10:13], v30 offset:400
	v_add_f64 v[26:27], v[26:27], v[37:38]
	v_add_f64 v[24:25], v[24:25], v[41:42]
	v_fma_f64 v[43:44], v[6:7], v[2:3], -v[39:40]
	v_fma_f64 v[45:46], v[8:9], v[2:3], v[4:5]
	ds_read_b128 v[2:5], v30 offset:416
	s_waitcnt lgkmcnt(1)
	v_mul_f64 v[41:42], v[18:19], v[12:13]
	v_mul_f64 v[12:13], v[16:17], v[12:13]
	ds_read_b128 v[6:9], v32 offset:13312
	ds_read_b128 v[37:40], v32 offset:13824
	v_add_f64 v[20:21], v[26:27], v[20:21]
	v_add_f64 v[22:23], v[24:25], v[22:23]
	ds_read_b128 v[24:27], v30 offset:432
	v_fma_f64 v[41:42], v[16:17], v[10:11], -v[41:42]
	v_fma_f64 v[10:11], v[18:19], v[10:11], v[12:13]
	s_waitcnt lgkmcnt(2)
	v_mul_f64 v[12:13], v[8:9], v[4:5]
	v_mul_f64 v[4:5], v[6:7], v[4:5]
	v_add_f64 v[20:21], v[20:21], v[43:44]
	v_add_f64 v[43:44], v[22:23], v[45:46]
	v_fma_f64 v[18:19], v[6:7], v[2:3], -v[12:13]
	v_fma_f64 v[16:17], v[8:9], v[2:3], v[4:5]
	ds_read_b128 v[2:5], v30 offset:448
	s_waitcnt lgkmcnt(1)
	v_mul_f64 v[45:46], v[39:40], v[26:27]
	v_mul_f64 v[47:48], v[37:38], v[26:27]
	v_add_f64 v[22:23], v[20:21], v[41:42]
	v_add_f64 v[20:21], v[43:44], v[10:11]
	ds_read_b128 v[6:9], v32 offset:14336
	ds_read_b128 v[10:13], v32 offset:14848
	;; [unrolled: 1-line block ×3, first 2 shown]
	v_fma_f64 v[26:27], v[37:38], v[24:25], -v[45:46]
	v_fma_f64 v[24:25], v[39:40], v[24:25], v[47:48]
	global_load_dwordx4 v[37:40], v[14:15], off
	v_add_f64 v[18:19], v[22:23], v[18:19]
	s_waitcnt lgkmcnt(2)
	v_mul_f64 v[22:23], v[8:9], v[4:5]
	v_add_f64 v[16:17], v[20:21], v[16:17]
	v_mul_f64 v[4:5], v[6:7], v[4:5]
	v_add_f64 v[26:27], v[18:19], v[26:27]
	v_fma_f64 v[20:21], v[6:7], v[2:3], -v[22:23]
	v_add_f64 v[24:25], v[16:17], v[24:25]
	v_fma_f64 v[22:23], v[8:9], v[2:3], v[4:5]
	ds_read_b128 v[6:9], v30 offset:480
	s_waitcnt lgkmcnt(1)
	v_mul_f64 v[45:46], v[12:13], v[43:44]
	v_mul_f64 v[43:44], v[10:11], v[43:44]
	ds_read_b128 v[2:5], v32 offset:15360
	v_add_f64 v[20:21], v[26:27], v[20:21]
	v_add_f64 v[22:23], v[24:25], v[22:23]
	s_waitcnt lgkmcnt(0)
	v_mul_f64 v[26:27], v[4:5], v[8:9]
	v_fma_f64 v[45:46], v[10:11], v[41:42], -v[45:46]
	v_fma_f64 v[41:42], v[12:13], v[41:42], v[43:44]
	v_mul_f64 v[8:9], v[2:3], v[8:9]
	ds_read_b128 v[10:13], v32 offset:15872
	ds_read_b128 v[16:19], v30 offset:496
	v_fma_f64 v[2:3], v[2:3], v[6:7], -v[26:27]
	v_add_f64 v[20:21], v[20:21], v[45:46]
	v_fma_f64 v[4:5], v[4:5], v[6:7], v[8:9]
	s_waitcnt lgkmcnt(0)
	v_mul_f64 v[6:7], v[12:13], v[18:19]
	v_mul_f64 v[8:9], v[10:11], v[18:19]
	v_add_f64 v[18:19], v[22:23], v[41:42]
	v_add_f64 v[2:3], v[20:21], v[2:3]
	v_fma_f64 v[6:7], v[10:11], v[16:17], -v[6:7]
	v_fma_f64 v[8:9], v[12:13], v[16:17], v[8:9]
	v_add_f64 v[4:5], v[18:19], v[4:5]
	v_add_f64 v[2:3], v[2:3], v[6:7]
	;; [unrolled: 1-line block ×3, first 2 shown]
	v_mul_f64 v[8:9], s[30:31], v[2:3]
	v_mul_f64 v[6:7], s[30:31], v[4:5]
	v_fma_f64 v[4:5], s[28:29], v[4:5], v[8:9]
	v_fma_f64 v[2:3], s[28:29], v[2:3], -v[6:7]
	s_waitcnt vmcnt(0)
	v_add_f64 v[2:3], v[37:38], v[2:3]
	v_add_f64 v[4:5], v[39:40], v[4:5]
	global_store_dwordx4 v[14:15], v[2:5], off
	s_branch .LBB20_6
.LBB20_13:
	s_endpgm
	.section	.rodata,"a",@progbits
	.p2align	6, 0x0
	.amdhsa_kernel _ZL24rocblas_symm_hemm_kernelILb0ELb1ELi32EPK19rocblas_complex_numIdES3_PS1_EvbiiT2_T3_lllS6_lllT4_llli
		.amdhsa_group_segment_fixed_size 32768
		.amdhsa_private_segment_fixed_size 0
		.amdhsa_kernarg_size 384
		.amdhsa_user_sgpr_count 6
		.amdhsa_user_sgpr_private_segment_buffer 1
		.amdhsa_user_sgpr_dispatch_ptr 0
		.amdhsa_user_sgpr_queue_ptr 0
		.amdhsa_user_sgpr_kernarg_segment_ptr 1
		.amdhsa_user_sgpr_dispatch_id 0
		.amdhsa_user_sgpr_flat_scratch_init 0
		.amdhsa_user_sgpr_private_segment_size 0
		.amdhsa_uses_dynamic_stack 0
		.amdhsa_system_sgpr_private_segment_wavefront_offset 0
		.amdhsa_system_sgpr_workgroup_id_x 1
		.amdhsa_system_sgpr_workgroup_id_y 1
		.amdhsa_system_sgpr_workgroup_id_z 1
		.amdhsa_system_sgpr_workgroup_info 0
		.amdhsa_system_vgpr_workitem_id 1
		.amdhsa_next_free_vgpr 49
		.amdhsa_next_free_sgpr 61
		.amdhsa_reserve_vcc 1
		.amdhsa_reserve_flat_scratch 0
		.amdhsa_float_round_mode_32 0
		.amdhsa_float_round_mode_16_64 0
		.amdhsa_float_denorm_mode_32 3
		.amdhsa_float_denorm_mode_16_64 3
		.amdhsa_dx10_clamp 1
		.amdhsa_ieee_mode 1
		.amdhsa_fp16_overflow 0
		.amdhsa_exception_fp_ieee_invalid_op 0
		.amdhsa_exception_fp_denorm_src 0
		.amdhsa_exception_fp_ieee_div_zero 0
		.amdhsa_exception_fp_ieee_overflow 0
		.amdhsa_exception_fp_ieee_underflow 0
		.amdhsa_exception_fp_ieee_inexact 0
		.amdhsa_exception_int_div_zero 0
	.end_amdhsa_kernel
	.section	.text._ZL24rocblas_symm_hemm_kernelILb0ELb1ELi32EPK19rocblas_complex_numIdES3_PS1_EvbiiT2_T3_lllS6_lllT4_llli,"axG",@progbits,_ZL24rocblas_symm_hemm_kernelILb0ELb1ELi32EPK19rocblas_complex_numIdES3_PS1_EvbiiT2_T3_lllS6_lllT4_llli,comdat
.Lfunc_end20:
	.size	_ZL24rocblas_symm_hemm_kernelILb0ELb1ELi32EPK19rocblas_complex_numIdES3_PS1_EvbiiT2_T3_lllS6_lllT4_llli, .Lfunc_end20-_ZL24rocblas_symm_hemm_kernelILb0ELb1ELi32EPK19rocblas_complex_numIdES3_PS1_EvbiiT2_T3_lllS6_lllT4_llli
                                        ; -- End function
	.set _ZL24rocblas_symm_hemm_kernelILb0ELb1ELi32EPK19rocblas_complex_numIdES3_PS1_EvbiiT2_T3_lllS6_lllT4_llli.num_vgpr, 49
	.set _ZL24rocblas_symm_hemm_kernelILb0ELb1ELi32EPK19rocblas_complex_numIdES3_PS1_EvbiiT2_T3_lllS6_lllT4_llli.num_agpr, 0
	.set _ZL24rocblas_symm_hemm_kernelILb0ELb1ELi32EPK19rocblas_complex_numIdES3_PS1_EvbiiT2_T3_lllS6_lllT4_llli.numbered_sgpr, 48
	.set _ZL24rocblas_symm_hemm_kernelILb0ELb1ELi32EPK19rocblas_complex_numIdES3_PS1_EvbiiT2_T3_lllS6_lllT4_llli.num_named_barrier, 0
	.set _ZL24rocblas_symm_hemm_kernelILb0ELb1ELi32EPK19rocblas_complex_numIdES3_PS1_EvbiiT2_T3_lllS6_lllT4_llli.private_seg_size, 0
	.set _ZL24rocblas_symm_hemm_kernelILb0ELb1ELi32EPK19rocblas_complex_numIdES3_PS1_EvbiiT2_T3_lllS6_lllT4_llli.uses_vcc, 1
	.set _ZL24rocblas_symm_hemm_kernelILb0ELb1ELi32EPK19rocblas_complex_numIdES3_PS1_EvbiiT2_T3_lllS6_lllT4_llli.uses_flat_scratch, 0
	.set _ZL24rocblas_symm_hemm_kernelILb0ELb1ELi32EPK19rocblas_complex_numIdES3_PS1_EvbiiT2_T3_lllS6_lllT4_llli.has_dyn_sized_stack, 0
	.set _ZL24rocblas_symm_hemm_kernelILb0ELb1ELi32EPK19rocblas_complex_numIdES3_PS1_EvbiiT2_T3_lllS6_lllT4_llli.has_recursion, 0
	.set _ZL24rocblas_symm_hemm_kernelILb0ELb1ELi32EPK19rocblas_complex_numIdES3_PS1_EvbiiT2_T3_lllS6_lllT4_llli.has_indirect_call, 0
	.section	.AMDGPU.csdata,"",@progbits
; Kernel info:
; codeLenInByte = 3016
; TotalNumSgprs: 52
; NumVgprs: 49
; ScratchSize: 0
; MemoryBound: 1
; FloatMode: 240
; IeeeMode: 1
; LDSByteSize: 32768 bytes/workgroup (compile time only)
; SGPRBlocks: 8
; VGPRBlocks: 12
; NumSGPRsForWavesPerEU: 65
; NumVGPRsForWavesPerEU: 49
; Occupancy: 4
; WaveLimiterHint : 0
; COMPUTE_PGM_RSRC2:SCRATCH_EN: 0
; COMPUTE_PGM_RSRC2:USER_SGPR: 6
; COMPUTE_PGM_RSRC2:TRAP_HANDLER: 0
; COMPUTE_PGM_RSRC2:TGID_X_EN: 1
; COMPUTE_PGM_RSRC2:TGID_Y_EN: 1
; COMPUTE_PGM_RSRC2:TGID_Z_EN: 1
; COMPUTE_PGM_RSRC2:TIDIG_COMP_CNT: 1
	.section	.text._ZL25rocblas_symm_scale_kernelILi128ELi8E19rocblas_complex_numIdEPS1_EviiT1_T2_llli,"axG",@progbits,_ZL25rocblas_symm_scale_kernelILi128ELi8E19rocblas_complex_numIdEPS1_EviiT1_T2_llli,comdat
	.globl	_ZL25rocblas_symm_scale_kernelILi128ELi8E19rocblas_complex_numIdEPS1_EviiT1_T2_llli ; -- Begin function _ZL25rocblas_symm_scale_kernelILi128ELi8E19rocblas_complex_numIdEPS1_EviiT1_T2_llli
	.p2align	8
	.type	_ZL25rocblas_symm_scale_kernelILi128ELi8E19rocblas_complex_numIdEPS1_EviiT1_T2_llli,@function
_ZL25rocblas_symm_scale_kernelILi128ELi8E19rocblas_complex_numIdEPS1_EviiT1_T2_llli: ; @_ZL25rocblas_symm_scale_kernelILi128ELi8E19rocblas_complex_numIdEPS1_EviiT1_T2_llli
; %bb.0:
	s_load_dwordx8 s[12:19], s[4:5], 0x8
	s_waitcnt lgkmcnt(0)
	v_cmp_eq_f64_e64 s[0:1], s[12:13], 1.0
	v_cmp_eq_f64_e64 s[2:3], s[14:15], 0
	s_and_b64 s[0:1], s[0:1], s[2:3]
	s_and_b64 vcc, exec, s[0:1]
	s_cbranch_vccnz .LBB21_6
; %bb.1:
	s_load_dwordx2 s[0:1], s[4:5], 0x0
	v_lshl_add_u32 v0, s6, 7, v0
	v_lshl_add_u32 v4, s7, 3, v1
	v_mov_b32_e32 v5, 0
	s_waitcnt lgkmcnt(0)
	s_ashr_i32 s7, s1, 31
	s_mov_b32 s6, s1
	v_cmp_gt_i64_e32 vcc, s[6:7], v[4:5]
	v_cmp_gt_u32_e64 s[0:1], s0, v0
	s_and_b64 s[0:1], s[0:1], vcc
	s_and_saveexec_b64 s[2:3], s[0:1]
	s_cbranch_execz .LBB21_6
; %bb.2:
	s_load_dwordx4 s[0:3], s[4:5], 0x28
	s_load_dword s9, s[4:5], 0x44
	v_cmp_neq_f64_e64 s[20:21], s[12:13], 0
	v_cmp_neq_f64_e64 s[22:23], s[14:15], 0
	v_mov_b32_e32 v1, v5
	s_waitcnt lgkmcnt(0)
	v_mad_u64_u32 v[2:3], s[4:5], s0, v4, 0
	s_mul_i32 s3, s3, s8
	s_mul_hi_u32 s5, s2, s8
	s_add_i32 s3, s5, s3
	s_mul_i32 s2, s2, s8
	s_or_b64 s[20:21], s[20:21], s[22:23]
	v_mad_u64_u32 v[6:7], s[22:23], s1, v4, v[3:4]
	s_lshl_b32 s4, s9, 3
	s_lshl_b64 s[2:3], s[2:3], 4
	v_mov_b32_e32 v3, v6
	s_lshl_b64 s[8:9], s[18:19], 4
	v_lshlrev_b64 v[2:3], 4, v[2:3]
	s_add_u32 s2, s8, s2
	s_addc_u32 s3, s9, s3
	v_mov_b32_e32 v6, s3
	v_add_co_u32_e32 v2, vcc, s2, v2
	v_lshlrev_b64 v[0:1], 4, v[0:1]
	v_addc_co_u32_e32 v3, vcc, v6, v3, vcc
	v_add_co_u32_e32 v0, vcc, v2, v0
	v_addc_co_u32_e32 v1, vcc, v3, v1, vcc
	v_mov_b32_e32 v2, s17
	v_add_co_u32_e32 v0, vcc, s16, v0
	v_addc_co_u32_e32 v1, vcc, v2, v1, vcc
	s_mul_i32 s1, s1, s4
	s_mul_hi_u32 s2, s0, s4
	v_add_co_u32_e32 v6, vcc, 8, v0
	s_add_i32 s1, s2, s1
	s_mul_i32 s0, s0, s4
	v_cndmask_b32_e64 v0, 0, 1, s[20:21]
	s_mov_b64 s[10:11], 0
	v_addc_co_u32_e32 v7, vcc, 0, v1, vcc
	s_lshl_b64 s[2:3], s[0:1], 4
	v_cmp_ne_u32_e64 s[0:1], 1, v0
	s_branch .LBB21_4
.LBB21_3:                               ;   in Loop: Header=BB21_4 Depth=1
	v_add_co_u32_e32 v4, vcc, s4, v4
	v_addc_co_u32_e32 v5, vcc, 0, v5, vcc
	v_cmp_le_i64_e32 vcc, s[6:7], v[4:5]
	global_store_dwordx4 v[6:7], v[0:3], off offset:-8
	s_or_b64 s[10:11], vcc, s[10:11]
	v_mov_b32_e32 v0, s3
	v_add_co_u32_e32 v6, vcc, s2, v6
	v_addc_co_u32_e32 v7, vcc, v7, v0, vcc
	s_andn2_b64 exec, exec, s[10:11]
	s_cbranch_execz .LBB21_6
.LBB21_4:                               ; =>This Inner Loop Header: Depth=1
	v_mov_b32_e32 v2, 0
	v_mov_b32_e32 v0, 0
	;; [unrolled: 1-line block ×3, first 2 shown]
	s_and_b64 vcc, exec, s[0:1]
	v_mov_b32_e32 v1, 0
	s_cbranch_vccnz .LBB21_3
; %bb.5:                                ;   in Loop: Header=BB21_4 Depth=1
	global_load_dwordx4 v[8:11], v[6:7], off offset:-8
	s_waitcnt vmcnt(0)
	v_mul_f64 v[0:1], s[14:15], v[10:11]
	v_mul_f64 v[2:3], s[12:13], v[10:11]
	v_fma_f64 v[0:1], s[12:13], v[8:9], -v[0:1]
	v_fma_f64 v[2:3], s[14:15], v[8:9], v[2:3]
	s_branch .LBB21_3
.LBB21_6:
	s_endpgm
	.section	.rodata,"a",@progbits
	.p2align	6, 0x0
	.amdhsa_kernel _ZL25rocblas_symm_scale_kernelILi128ELi8E19rocblas_complex_numIdEPS1_EviiT1_T2_llli
		.amdhsa_group_segment_fixed_size 0
		.amdhsa_private_segment_fixed_size 0
		.amdhsa_kernarg_size 320
		.amdhsa_user_sgpr_count 6
		.amdhsa_user_sgpr_private_segment_buffer 1
		.amdhsa_user_sgpr_dispatch_ptr 0
		.amdhsa_user_sgpr_queue_ptr 0
		.amdhsa_user_sgpr_kernarg_segment_ptr 1
		.amdhsa_user_sgpr_dispatch_id 0
		.amdhsa_user_sgpr_flat_scratch_init 0
		.amdhsa_user_sgpr_private_segment_size 0
		.amdhsa_uses_dynamic_stack 0
		.amdhsa_system_sgpr_private_segment_wavefront_offset 0
		.amdhsa_system_sgpr_workgroup_id_x 1
		.amdhsa_system_sgpr_workgroup_id_y 1
		.amdhsa_system_sgpr_workgroup_id_z 1
		.amdhsa_system_sgpr_workgroup_info 0
		.amdhsa_system_vgpr_workitem_id 1
		.amdhsa_next_free_vgpr 12
		.amdhsa_next_free_sgpr 24
		.amdhsa_reserve_vcc 1
		.amdhsa_reserve_flat_scratch 0
		.amdhsa_float_round_mode_32 0
		.amdhsa_float_round_mode_16_64 0
		.amdhsa_float_denorm_mode_32 3
		.amdhsa_float_denorm_mode_16_64 3
		.amdhsa_dx10_clamp 1
		.amdhsa_ieee_mode 1
		.amdhsa_fp16_overflow 0
		.amdhsa_exception_fp_ieee_invalid_op 0
		.amdhsa_exception_fp_denorm_src 0
		.amdhsa_exception_fp_ieee_div_zero 0
		.amdhsa_exception_fp_ieee_overflow 0
		.amdhsa_exception_fp_ieee_underflow 0
		.amdhsa_exception_fp_ieee_inexact 0
		.amdhsa_exception_int_div_zero 0
	.end_amdhsa_kernel
	.section	.text._ZL25rocblas_symm_scale_kernelILi128ELi8E19rocblas_complex_numIdEPS1_EviiT1_T2_llli,"axG",@progbits,_ZL25rocblas_symm_scale_kernelILi128ELi8E19rocblas_complex_numIdEPS1_EviiT1_T2_llli,comdat
.Lfunc_end21:
	.size	_ZL25rocblas_symm_scale_kernelILi128ELi8E19rocblas_complex_numIdEPS1_EviiT1_T2_llli, .Lfunc_end21-_ZL25rocblas_symm_scale_kernelILi128ELi8E19rocblas_complex_numIdEPS1_EviiT1_T2_llli
                                        ; -- End function
	.set _ZL25rocblas_symm_scale_kernelILi128ELi8E19rocblas_complex_numIdEPS1_EviiT1_T2_llli.num_vgpr, 12
	.set _ZL25rocblas_symm_scale_kernelILi128ELi8E19rocblas_complex_numIdEPS1_EviiT1_T2_llli.num_agpr, 0
	.set _ZL25rocblas_symm_scale_kernelILi128ELi8E19rocblas_complex_numIdEPS1_EviiT1_T2_llli.numbered_sgpr, 24
	.set _ZL25rocblas_symm_scale_kernelILi128ELi8E19rocblas_complex_numIdEPS1_EviiT1_T2_llli.num_named_barrier, 0
	.set _ZL25rocblas_symm_scale_kernelILi128ELi8E19rocblas_complex_numIdEPS1_EviiT1_T2_llli.private_seg_size, 0
	.set _ZL25rocblas_symm_scale_kernelILi128ELi8E19rocblas_complex_numIdEPS1_EviiT1_T2_llli.uses_vcc, 1
	.set _ZL25rocblas_symm_scale_kernelILi128ELi8E19rocblas_complex_numIdEPS1_EviiT1_T2_llli.uses_flat_scratch, 0
	.set _ZL25rocblas_symm_scale_kernelILi128ELi8E19rocblas_complex_numIdEPS1_EviiT1_T2_llli.has_dyn_sized_stack, 0
	.set _ZL25rocblas_symm_scale_kernelILi128ELi8E19rocblas_complex_numIdEPS1_EviiT1_T2_llli.has_recursion, 0
	.set _ZL25rocblas_symm_scale_kernelILi128ELi8E19rocblas_complex_numIdEPS1_EviiT1_T2_llli.has_indirect_call, 0
	.section	.AMDGPU.csdata,"",@progbits
; Kernel info:
; codeLenInByte = 424
; TotalNumSgprs: 28
; NumVgprs: 12
; ScratchSize: 0
; MemoryBound: 0
; FloatMode: 240
; IeeeMode: 1
; LDSByteSize: 0 bytes/workgroup (compile time only)
; SGPRBlocks: 3
; VGPRBlocks: 2
; NumSGPRsForWavesPerEU: 28
; NumVGPRsForWavesPerEU: 12
; Occupancy: 10
; WaveLimiterHint : 0
; COMPUTE_PGM_RSRC2:SCRATCH_EN: 0
; COMPUTE_PGM_RSRC2:USER_SGPR: 6
; COMPUTE_PGM_RSRC2:TRAP_HANDLER: 0
; COMPUTE_PGM_RSRC2:TGID_X_EN: 1
; COMPUTE_PGM_RSRC2:TGID_Y_EN: 1
; COMPUTE_PGM_RSRC2:TGID_Z_EN: 1
; COMPUTE_PGM_RSRC2:TIDIG_COMP_CNT: 1
	.section	.text._ZL24rocblas_symm_hemm_kernelILb0ELb0ELi32E19rocblas_complex_numIdEPKS1_PS1_EvbiiT2_T3_lllS6_lllT4_llli,"axG",@progbits,_ZL24rocblas_symm_hemm_kernelILb0ELb0ELi32E19rocblas_complex_numIdEPKS1_PS1_EvbiiT2_T3_lllS6_lllT4_llli,comdat
	.globl	_ZL24rocblas_symm_hemm_kernelILb0ELb0ELi32E19rocblas_complex_numIdEPKS1_PS1_EvbiiT2_T3_lllS6_lllT4_llli ; -- Begin function _ZL24rocblas_symm_hemm_kernelILb0ELb0ELi32E19rocblas_complex_numIdEPKS1_PS1_EvbiiT2_T3_lllS6_lllT4_llli
	.p2align	8
	.type	_ZL24rocblas_symm_hemm_kernelILb0ELb0ELi32E19rocblas_complex_numIdEPKS1_PS1_EvbiiT2_T3_lllS6_lllT4_llli,@function
_ZL24rocblas_symm_hemm_kernelILb0ELb0ELi32E19rocblas_complex_numIdEPKS1_PS1_EvbiiT2_T3_lllS6_lllT4_llli: ; @_ZL24rocblas_symm_hemm_kernelILb0ELb0ELi32E19rocblas_complex_numIdEPKS1_PS1_EvbiiT2_T3_lllS6_lllT4_llli
; %bb.0:
	s_load_dwordx16 s[12:27], s[4:5], 0x10
	s_waitcnt lgkmcnt(0)
	v_cmp_eq_f64_e64 s[0:1], s[12:13], 0
	v_cmp_eq_f64_e64 s[2:3], s[14:15], 0
	s_and_b64 s[0:1], s[0:1], s[2:3]
	s_and_b64 vcc, exec, s[0:1]
	s_cbranch_vccnz .LBB22_13
; %bb.1:
	s_load_dwordx4 s[28:31], s[4:5], 0x0
	s_waitcnt lgkmcnt(0)
	s_add_i32 s0, s30, -1
	s_ashr_i32 s1, s0, 31
	s_lshr_b32 s1, s1, 27
	s_add_i32 s0, s0, s1
	s_ashr_i32 s31, s0, 5
	s_cmp_gt_i32 s7, s31
	s_cbranch_scc1 .LBB22_13
; %bb.2:
	s_mul_i32 s0, s23, s8
	s_mul_hi_u32 s1, s22, s8
	s_add_i32 s1, s1, s0
	s_mul_i32 s0, s22, s8
	s_load_dwordx8 s[36:43], s[4:5], 0x50
	s_load_dwordx4 s[44:47], s[4:5], 0x70
	s_lshl_b64 s[0:1], s[0:1], 4
	s_add_u32 s2, s16, s0
	s_addc_u32 s3, s17, s1
	s_lshl_b64 s[0:1], s[18:19], 4
	s_add_u32 s18, s2, s0
	s_addc_u32 s19, s3, s1
	s_waitcnt lgkmcnt(0)
	s_mul_i32 s0, s39, s8
	s_mul_hi_u32 s1, s38, s8
	s_add_i32 s1, s1, s0
	s_mul_i32 s0, s38, s8
	s_lshl_b64 s[0:1], s[0:1], 4
	s_add_u32 s2, s24, s0
	s_addc_u32 s3, s25, s1
	s_lshl_b64 s[0:1], s[26:27], 4
	s_add_u32 s22, s2, s0
	s_addc_u32 s23, s3, s1
	s_bitcmp1_b32 s28, 0
	s_mul_i32 s2, s47, s8
	s_mul_hi_u32 s3, s46, s8
	s_cselect_b64 s[0:1], -1, 0
	s_add_i32 s3, s3, s2
	s_mul_i32 s2, s46, s8
	s_lshl_b64 s[2:3], s[2:3], 4
	s_load_dword s24, s[4:5], 0x8c
	s_add_u32 s4, s40, s2
	s_addc_u32 s5, s41, s3
	s_lshl_b64 s[2:3], s[42:43], 4
	v_lshl_add_u32 v14, s6, 5, v0
	s_add_u32 s4, s4, s2
	v_lshlrev_b32_e32 v29, 9, v0
	v_lshlrev_b32_e32 v2, 4, v1
	v_ashrrev_i32_e32 v15, 31, v14
	s_addc_u32 s5, s5, s3
	v_add_u32_e32 v30, v29, v2
	v_or_b32_e32 v31, 0x4000, v2
	v_lshlrev_b64 v[2:3], 4, v[14:15]
	s_cmp_gt_i32 s29, 0
	v_mov_b32_e32 v4, s5
	v_add_co_u32_e32 v33, vcc, s4, v2
	s_cselect_b64 s[4:5], -1, 0
	v_cndmask_b32_e64 v2, 0, 1, s[4:5]
	v_add_u32_e32 v32, v31, v29
	v_cmp_gt_i32_e64 s[2:3], s29, v14
	v_addc_co_u32_e32 v34, vcc, v4, v3, vcc
	v_cmp_ne_u32_e64 s[4:5], 1, v2
	s_branch .LBB22_4
.LBB22_3:                               ;   in Loop: Header=BB22_4 Depth=1
	s_waitcnt lgkmcnt(0)
	s_add_i32 s7, s7, s24
	s_cmp_gt_i32 s7, s31
	s_cbranch_scc1 .LBB22_13
.LBB22_4:                               ; =>This Loop Header: Depth=1
                                        ;     Child Loop BB22_7 Depth 2
	s_and_b64 vcc, exec, s[4:5]
	s_cbranch_vccnz .LBB22_3
; %bb.5:                                ;   in Loop: Header=BB22_4 Depth=1
	v_lshl_add_u32 v4, s7, 5, v1
	v_ashrrev_i32_e32 v5, 31, v4
	v_mul_lo_u32 v6, s36, v5
	v_mul_lo_u32 v7, s37, v4
	v_mad_u64_u32 v[2:3], s[8:9], s36, v4, 0
	v_cmp_gt_i32_e32 vcc, s30, v4
	v_mul_lo_u32 v8, s45, v4
	v_add3_u32 v3, v3, v6, v7
	v_mul_lo_u32 v7, s44, v5
	v_mad_u64_u32 v[4:5], s[8:9], s44, v4, 0
	v_lshlrev_b64 v[2:3], 4, v[2:3]
	v_mov_b32_e32 v6, s23
	v_add_co_u32_e64 v35, s[8:9], s22, v2
	v_add3_u32 v5, v5, v7, v8
	v_addc_co_u32_e64 v36, s[8:9], v6, v3, s[8:9]
	v_lshlrev_b64 v[2:3], 4, v[4:5]
	s_and_b64 s[10:11], s[2:3], vcc
	v_add_co_u32_e64 v15, s[8:9], v33, v2
	v_addc_co_u32_e64 v16, s[8:9], v34, v3, s[8:9]
	s_mov_b32 s6, 0
	s_branch .LBB22_7
.LBB22_6:                               ;   in Loop: Header=BB22_7 Depth=2
	s_or_b64 exec, exec, s[8:9]
	s_add_i32 s6, s6, 32
	s_cmp_ge_i32 s6, s29
	s_waitcnt vmcnt(0)
	s_barrier
	s_cbranch_scc1 .LBB22_3
.LBB22_7:                               ;   Parent Loop BB22_4 Depth=1
                                        ; =>  This Inner Loop Header: Depth=2
	v_add_u32_e32 v2, s6, v1
	v_cndmask_b32_e64 v3, v2, v14, s[0:1]
	v_cndmask_b32_e64 v4, v14, v2, s[0:1]
	v_cmp_gt_i32_e64 s[8:9], v3, v4
	v_cndmask_b32_e64 v8, v14, v2, s[8:9]
	v_cndmask_b32_e64 v9, v2, v14, s[8:9]
	v_max_i32_e32 v10, v8, v9
	v_mov_b32_e32 v2, 0
	v_mov_b32_e32 v4, 0
	;; [unrolled: 1-line block ×6, first 2 shown]
	v_cmp_gt_i32_e64 s[8:9], s29, v10
	s_and_saveexec_b64 s[16:17], s[8:9]
	s_cbranch_execz .LBB22_9
; %bb.8:                                ;   in Loop: Header=BB22_7 Depth=2
	v_ashrrev_i32_e32 v6, 31, v9
	v_mul_lo_u32 v7, s21, v9
	v_mad_u64_u32 v[4:5], s[8:9], s20, v9, 0
	v_mul_lo_u32 v6, s20, v6
	v_ashrrev_i32_e32 v9, 31, v8
	v_add3_u32 v5, v5, v6, v7
	v_lshlrev_b64 v[4:5], 4, v[4:5]
	v_mov_b32_e32 v6, s19
	v_add_co_u32_e64 v7, s[8:9], s18, v4
	v_addc_co_u32_e64 v6, s[8:9], v6, v5, s[8:9]
	v_lshlrev_b64 v[4:5], 4, v[8:9]
	v_add_co_u32_e64 v4, s[8:9], v7, v4
	v_addc_co_u32_e64 v5, s[8:9], v6, v5, s[8:9]
	global_load_dwordx4 v[4:7], v[4:5], off
.LBB22_9:                               ;   in Loop: Header=BB22_7 Depth=2
	s_or_b64 exec, exec, s[16:17]
	s_waitcnt vmcnt(0)
	ds_write_b128 v30, v[4:7]
	v_add_u32_e32 v6, s6, v0
	v_cmp_gt_i32_e64 s[8:9], s29, v6
	v_mov_b32_e32 v4, 0
	v_mov_b32_e32 v5, 0
	s_and_b64 s[8:9], s[8:9], vcc
	s_and_saveexec_b64 s[16:17], s[8:9]
	s_cbranch_execz .LBB22_11
; %bb.10:                               ;   in Loop: Header=BB22_7 Depth=2
	v_ashrrev_i32_e32 v7, 31, v6
	v_lshlrev_b64 v[2:3], 4, v[6:7]
	v_add_co_u32_e64 v2, s[8:9], v35, v2
	v_addc_co_u32_e64 v3, s[8:9], v36, v3, s[8:9]
	global_load_dwordx4 v[2:5], v[2:3], off
.LBB22_11:                              ;   in Loop: Header=BB22_7 Depth=2
	s_or_b64 exec, exec, s[16:17]
	s_waitcnt vmcnt(0)
	ds_write_b128 v32, v[2:5]
	s_waitcnt lgkmcnt(0)
	s_barrier
	s_and_saveexec_b64 s[8:9], s[10:11]
	s_cbranch_execz .LBB22_6
; %bb.12:                               ;   in Loop: Header=BB22_7 Depth=2
	ds_read_b128 v[2:5], v31
	ds_read_b128 v[6:9], v29
	ds_read_b128 v[10:13], v29 offset:16
	ds_read_b128 v[17:20], v31 offset:512
	;; [unrolled: 1-line block ×3, first 2 shown]
	s_waitcnt lgkmcnt(3)
	v_mul_f64 v[25:26], v[4:5], v[8:9]
	v_mul_f64 v[8:9], v[2:3], v[8:9]
	s_waitcnt lgkmcnt(1)
	v_mul_f64 v[37:38], v[19:20], v[12:13]
	v_mul_f64 v[12:13], v[17:18], v[12:13]
	v_fma_f64 v[39:40], v[2:3], v[6:7], -v[25:26]
	v_fma_f64 v[41:42], v[4:5], v[6:7], v[8:9]
	ds_read_b128 v[2:5], v29 offset:32
	ds_read_b128 v[6:9], v29 offset:48
	;; [unrolled: 1-line block ×3, first 2 shown]
	v_fma_f64 v[17:18], v[17:18], v[10:11], -v[37:38]
	v_fma_f64 v[10:11], v[19:20], v[10:11], v[12:13]
	s_waitcnt lgkmcnt(2)
	v_mul_f64 v[12:13], v[23:24], v[4:5]
	v_mul_f64 v[4:5], v[21:22], v[4:5]
	v_add_f64 v[19:20], v[39:40], 0
	v_add_f64 v[37:38], v[41:42], 0
	s_waitcnt lgkmcnt(0)
	v_mul_f64 v[39:40], v[27:28], v[8:9]
	v_mul_f64 v[41:42], v[25:26], v[8:9]
	v_fma_f64 v[12:13], v[21:22], v[2:3], -v[12:13]
	v_fma_f64 v[43:44], v[23:24], v[2:3], v[4:5]
	ds_read_b128 v[2:5], v29 offset:64
	v_add_f64 v[45:46], v[19:20], v[17:18]
	v_add_f64 v[37:38], v[37:38], v[10:11]
	ds_read_b128 v[8:11], v31 offset:2048
	ds_read_b128 v[17:20], v31 offset:2560
	v_fma_f64 v[25:26], v[25:26], v[6:7], -v[39:40]
	v_fma_f64 v[6:7], v[27:28], v[6:7], v[41:42]
	ds_read_b128 v[21:24], v29 offset:80
	s_waitcnt lgkmcnt(2)
	v_mul_f64 v[27:28], v[10:11], v[4:5]
	v_mul_f64 v[4:5], v[8:9], v[4:5]
	v_add_f64 v[12:13], v[45:46], v[12:13]
	v_add_f64 v[37:38], v[37:38], v[43:44]
	v_fma_f64 v[27:28], v[8:9], v[2:3], -v[27:28]
	v_fma_f64 v[41:42], v[10:11], v[2:3], v[4:5]
	ds_read_b128 v[2:5], v29 offset:96
	s_waitcnt lgkmcnt(1)
	v_mul_f64 v[39:40], v[19:20], v[23:24]
	v_mul_f64 v[23:24], v[17:18], v[23:24]
	v_add_f64 v[25:26], v[12:13], v[25:26]
	v_add_f64 v[37:38], v[37:38], v[6:7]
	ds_read_b128 v[6:9], v31 offset:3072
	ds_read_b128 v[10:13], v31 offset:3584
	v_fma_f64 v[39:40], v[17:18], v[21:22], -v[39:40]
	v_fma_f64 v[21:22], v[19:20], v[21:22], v[23:24]
	s_waitcnt lgkmcnt(1)
	v_mul_f64 v[23:24], v[8:9], v[4:5]
	v_mul_f64 v[4:5], v[6:7], v[4:5]
	v_add_f64 v[25:26], v[25:26], v[27:28]
	v_add_f64 v[27:28], v[37:38], v[41:42]
	ds_read_b128 v[17:20], v29 offset:112
	v_fma_f64 v[23:24], v[6:7], v[2:3], -v[23:24]
	v_fma_f64 v[43:44], v[8:9], v[2:3], v[4:5]
	ds_read_b128 v[2:5], v29 offset:128
	s_waitcnt lgkmcnt(1)
	v_mul_f64 v[37:38], v[12:13], v[19:20]
	v_mul_f64 v[41:42], v[10:11], v[19:20]
	v_add_f64 v[25:26], v[25:26], v[39:40]
	v_add_f64 v[27:28], v[27:28], v[21:22]
	ds_read_b128 v[6:9], v31 offset:4096
	ds_read_b128 v[19:22], v31 offset:4608
	s_waitcnt lgkmcnt(1)
	v_mul_f64 v[39:40], v[8:9], v[4:5]
	v_mul_f64 v[4:5], v[6:7], v[4:5]
	v_fma_f64 v[37:38], v[10:11], v[17:18], -v[37:38]
	v_fma_f64 v[17:18], v[12:13], v[17:18], v[41:42]
	ds_read_b128 v[10:13], v29 offset:144
	v_add_f64 v[23:24], v[25:26], v[23:24]
	v_add_f64 v[25:26], v[27:28], v[43:44]
	v_fma_f64 v[39:40], v[6:7], v[2:3], -v[39:40]
	v_fma_f64 v[41:42], v[8:9], v[2:3], v[4:5]
	ds_read_b128 v[2:5], v29 offset:160
	s_waitcnt lgkmcnt(1)
	v_mul_f64 v[27:28], v[21:22], v[12:13]
	v_mul_f64 v[12:13], v[19:20], v[12:13]
	v_add_f64 v[37:38], v[23:24], v[37:38]
	v_add_f64 v[17:18], v[25:26], v[17:18]
	ds_read_b128 v[6:9], v31 offset:5120
	ds_read_b128 v[23:26], v31 offset:5632
	v_fma_f64 v[19:20], v[19:20], v[10:11], -v[27:28]
	s_waitcnt lgkmcnt(1)
	v_mul_f64 v[27:28], v[8:9], v[4:5]
	v_mul_f64 v[4:5], v[6:7], v[4:5]
	v_fma_f64 v[21:22], v[21:22], v[10:11], v[12:13]
	ds_read_b128 v[10:13], v29 offset:176
	v_add_f64 v[37:38], v[37:38], v[39:40]
	v_add_f64 v[17:18], v[17:18], v[41:42]
	v_fma_f64 v[27:28], v[6:7], v[2:3], -v[27:28]
	v_fma_f64 v[41:42], v[8:9], v[2:3], v[4:5]
	ds_read_b128 v[2:5], v29 offset:192
	s_waitcnt lgkmcnt(1)
	v_mul_f64 v[39:40], v[25:26], v[12:13]
	v_mul_f64 v[12:13], v[23:24], v[12:13]
	v_add_f64 v[37:38], v[37:38], v[19:20]
	v_add_f64 v[21:22], v[17:18], v[21:22]
	ds_read_b128 v[6:9], v31 offset:6144
	ds_read_b128 v[17:20], v31 offset:6656
	v_fma_f64 v[23:24], v[23:24], v[10:11], -v[39:40]
	s_waitcnt lgkmcnt(1)
	v_mul_f64 v[39:40], v[8:9], v[4:5]
	v_mul_f64 v[4:5], v[6:7], v[4:5]
	;; [unrolled: 18-line block ×8, first 2 shown]
	v_fma_f64 v[23:24], v[23:24], v[10:11], v[12:13]
	ds_read_b128 v[10:13], v29 offset:400
	v_add_f64 v[27:28], v[27:28], v[37:38]
	v_add_f64 v[25:26], v[25:26], v[41:42]
	v_fma_f64 v[43:44], v[6:7], v[2:3], -v[39:40]
	v_fma_f64 v[45:46], v[8:9], v[2:3], v[4:5]
	ds_read_b128 v[2:5], v29 offset:416
	s_waitcnt lgkmcnt(1)
	v_mul_f64 v[41:42], v[19:20], v[12:13]
	v_mul_f64 v[12:13], v[17:18], v[12:13]
	ds_read_b128 v[6:9], v31 offset:13312
	ds_read_b128 v[37:40], v31 offset:13824
	v_add_f64 v[21:22], v[27:28], v[21:22]
	v_add_f64 v[23:24], v[25:26], v[23:24]
	ds_read_b128 v[25:28], v29 offset:432
	v_fma_f64 v[41:42], v[17:18], v[10:11], -v[41:42]
	v_fma_f64 v[10:11], v[19:20], v[10:11], v[12:13]
	s_waitcnt lgkmcnt(2)
	v_mul_f64 v[12:13], v[8:9], v[4:5]
	v_mul_f64 v[4:5], v[6:7], v[4:5]
	v_add_f64 v[21:22], v[21:22], v[43:44]
	v_add_f64 v[43:44], v[23:24], v[45:46]
	v_fma_f64 v[19:20], v[6:7], v[2:3], -v[12:13]
	v_fma_f64 v[17:18], v[8:9], v[2:3], v[4:5]
	ds_read_b128 v[2:5], v29 offset:448
	s_waitcnt lgkmcnt(1)
	v_mul_f64 v[45:46], v[39:40], v[27:28]
	v_mul_f64 v[47:48], v[37:38], v[27:28]
	v_add_f64 v[23:24], v[21:22], v[41:42]
	v_add_f64 v[21:22], v[43:44], v[10:11]
	ds_read_b128 v[6:9], v31 offset:14336
	ds_read_b128 v[10:13], v31 offset:14848
	;; [unrolled: 1-line block ×3, first 2 shown]
	v_fma_f64 v[27:28], v[37:38], v[25:26], -v[45:46]
	v_fma_f64 v[25:26], v[39:40], v[25:26], v[47:48]
	global_load_dwordx4 v[37:40], v[15:16], off
	v_add_f64 v[19:20], v[23:24], v[19:20]
	s_waitcnt lgkmcnt(2)
	v_mul_f64 v[23:24], v[8:9], v[4:5]
	v_add_f64 v[17:18], v[21:22], v[17:18]
	v_mul_f64 v[4:5], v[6:7], v[4:5]
	v_add_f64 v[27:28], v[19:20], v[27:28]
	v_fma_f64 v[21:22], v[6:7], v[2:3], -v[23:24]
	v_add_f64 v[25:26], v[17:18], v[25:26]
	v_fma_f64 v[23:24], v[8:9], v[2:3], v[4:5]
	ds_read_b128 v[6:9], v29 offset:480
	s_waitcnt lgkmcnt(1)
	v_mul_f64 v[45:46], v[12:13], v[43:44]
	v_mul_f64 v[43:44], v[10:11], v[43:44]
	ds_read_b128 v[2:5], v31 offset:15360
	v_add_f64 v[21:22], v[27:28], v[21:22]
	v_add_f64 v[23:24], v[25:26], v[23:24]
	s_waitcnt lgkmcnt(0)
	v_mul_f64 v[27:28], v[4:5], v[8:9]
	v_fma_f64 v[45:46], v[10:11], v[41:42], -v[45:46]
	v_fma_f64 v[41:42], v[12:13], v[41:42], v[43:44]
	v_mul_f64 v[8:9], v[2:3], v[8:9]
	ds_read_b128 v[10:13], v31 offset:15872
	ds_read_b128 v[17:20], v29 offset:496
	v_fma_f64 v[2:3], v[2:3], v[6:7], -v[27:28]
	v_add_f64 v[21:22], v[21:22], v[45:46]
	v_fma_f64 v[4:5], v[4:5], v[6:7], v[8:9]
	s_waitcnt lgkmcnt(0)
	v_mul_f64 v[6:7], v[12:13], v[19:20]
	v_mul_f64 v[8:9], v[10:11], v[19:20]
	v_add_f64 v[19:20], v[23:24], v[41:42]
	v_add_f64 v[2:3], v[21:22], v[2:3]
	v_fma_f64 v[6:7], v[10:11], v[17:18], -v[6:7]
	v_fma_f64 v[8:9], v[12:13], v[17:18], v[8:9]
	v_add_f64 v[4:5], v[19:20], v[4:5]
	v_add_f64 v[2:3], v[2:3], v[6:7]
	;; [unrolled: 1-line block ×3, first 2 shown]
	v_mul_f64 v[8:9], s[14:15], v[2:3]
	v_mul_f64 v[6:7], s[14:15], v[4:5]
	v_fma_f64 v[4:5], s[12:13], v[4:5], v[8:9]
	v_fma_f64 v[2:3], s[12:13], v[2:3], -v[6:7]
	s_waitcnt vmcnt(0)
	v_add_f64 v[2:3], v[37:38], v[2:3]
	v_add_f64 v[4:5], v[39:40], v[4:5]
	global_store_dwordx4 v[15:16], v[2:5], off
	s_branch .LBB22_6
.LBB22_13:
	s_endpgm
	.section	.rodata,"a",@progbits
	.p2align	6, 0x0
	.amdhsa_kernel _ZL24rocblas_symm_hemm_kernelILb0ELb0ELi32E19rocblas_complex_numIdEPKS1_PS1_EvbiiT2_T3_lllS6_lllT4_llli
		.amdhsa_group_segment_fixed_size 32768
		.amdhsa_private_segment_fixed_size 0
		.amdhsa_kernarg_size 392
		.amdhsa_user_sgpr_count 6
		.amdhsa_user_sgpr_private_segment_buffer 1
		.amdhsa_user_sgpr_dispatch_ptr 0
		.amdhsa_user_sgpr_queue_ptr 0
		.amdhsa_user_sgpr_kernarg_segment_ptr 1
		.amdhsa_user_sgpr_dispatch_id 0
		.amdhsa_user_sgpr_flat_scratch_init 0
		.amdhsa_user_sgpr_private_segment_size 0
		.amdhsa_uses_dynamic_stack 0
		.amdhsa_system_sgpr_private_segment_wavefront_offset 0
		.amdhsa_system_sgpr_workgroup_id_x 1
		.amdhsa_system_sgpr_workgroup_id_y 1
		.amdhsa_system_sgpr_workgroup_id_z 1
		.amdhsa_system_sgpr_workgroup_info 0
		.amdhsa_system_vgpr_workitem_id 1
		.amdhsa_next_free_vgpr 49
		.amdhsa_next_free_sgpr 61
		.amdhsa_reserve_vcc 1
		.amdhsa_reserve_flat_scratch 0
		.amdhsa_float_round_mode_32 0
		.amdhsa_float_round_mode_16_64 0
		.amdhsa_float_denorm_mode_32 3
		.amdhsa_float_denorm_mode_16_64 3
		.amdhsa_dx10_clamp 1
		.amdhsa_ieee_mode 1
		.amdhsa_fp16_overflow 0
		.amdhsa_exception_fp_ieee_invalid_op 0
		.amdhsa_exception_fp_denorm_src 0
		.amdhsa_exception_fp_ieee_div_zero 0
		.amdhsa_exception_fp_ieee_overflow 0
		.amdhsa_exception_fp_ieee_underflow 0
		.amdhsa_exception_fp_ieee_inexact 0
		.amdhsa_exception_int_div_zero 0
	.end_amdhsa_kernel
	.section	.text._ZL24rocblas_symm_hemm_kernelILb0ELb0ELi32E19rocblas_complex_numIdEPKS1_PS1_EvbiiT2_T3_lllS6_lllT4_llli,"axG",@progbits,_ZL24rocblas_symm_hemm_kernelILb0ELb0ELi32E19rocblas_complex_numIdEPKS1_PS1_EvbiiT2_T3_lllS6_lllT4_llli,comdat
.Lfunc_end22:
	.size	_ZL24rocblas_symm_hemm_kernelILb0ELb0ELi32E19rocblas_complex_numIdEPKS1_PS1_EvbiiT2_T3_lllS6_lllT4_llli, .Lfunc_end22-_ZL24rocblas_symm_hemm_kernelILb0ELb0ELi32E19rocblas_complex_numIdEPKS1_PS1_EvbiiT2_T3_lllS6_lllT4_llli
                                        ; -- End function
	.set _ZL24rocblas_symm_hemm_kernelILb0ELb0ELi32E19rocblas_complex_numIdEPKS1_PS1_EvbiiT2_T3_lllS6_lllT4_llli.num_vgpr, 49
	.set _ZL24rocblas_symm_hemm_kernelILb0ELb0ELi32E19rocblas_complex_numIdEPKS1_PS1_EvbiiT2_T3_lllS6_lllT4_llli.num_agpr, 0
	.set _ZL24rocblas_symm_hemm_kernelILb0ELb0ELi32E19rocblas_complex_numIdEPKS1_PS1_EvbiiT2_T3_lllS6_lllT4_llli.numbered_sgpr, 48
	.set _ZL24rocblas_symm_hemm_kernelILb0ELb0ELi32E19rocblas_complex_numIdEPKS1_PS1_EvbiiT2_T3_lllS6_lllT4_llli.num_named_barrier, 0
	.set _ZL24rocblas_symm_hemm_kernelILb0ELb0ELi32E19rocblas_complex_numIdEPKS1_PS1_EvbiiT2_T3_lllS6_lllT4_llli.private_seg_size, 0
	.set _ZL24rocblas_symm_hemm_kernelILb0ELb0ELi32E19rocblas_complex_numIdEPKS1_PS1_EvbiiT2_T3_lllS6_lllT4_llli.uses_vcc, 1
	.set _ZL24rocblas_symm_hemm_kernelILb0ELb0ELi32E19rocblas_complex_numIdEPKS1_PS1_EvbiiT2_T3_lllS6_lllT4_llli.uses_flat_scratch, 0
	.set _ZL24rocblas_symm_hemm_kernelILb0ELb0ELi32E19rocblas_complex_numIdEPKS1_PS1_EvbiiT2_T3_lllS6_lllT4_llli.has_dyn_sized_stack, 0
	.set _ZL24rocblas_symm_hemm_kernelILb0ELb0ELi32E19rocblas_complex_numIdEPKS1_PS1_EvbiiT2_T3_lllS6_lllT4_llli.has_recursion, 0
	.set _ZL24rocblas_symm_hemm_kernelILb0ELb0ELi32E19rocblas_complex_numIdEPKS1_PS1_EvbiiT2_T3_lllS6_lllT4_llli.has_indirect_call, 0
	.section	.AMDGPU.csdata,"",@progbits
; Kernel info:
; codeLenInByte = 3076
; TotalNumSgprs: 52
; NumVgprs: 49
; ScratchSize: 0
; MemoryBound: 1
; FloatMode: 240
; IeeeMode: 1
; LDSByteSize: 32768 bytes/workgroup (compile time only)
; SGPRBlocks: 8
; VGPRBlocks: 12
; NumSGPRsForWavesPerEU: 65
; NumVGPRsForWavesPerEU: 49
; Occupancy: 4
; WaveLimiterHint : 0
; COMPUTE_PGM_RSRC2:SCRATCH_EN: 0
; COMPUTE_PGM_RSRC2:USER_SGPR: 6
; COMPUTE_PGM_RSRC2:TRAP_HANDLER: 0
; COMPUTE_PGM_RSRC2:TGID_X_EN: 1
; COMPUTE_PGM_RSRC2:TGID_Y_EN: 1
; COMPUTE_PGM_RSRC2:TGID_Z_EN: 1
; COMPUTE_PGM_RSRC2:TIDIG_COMP_CNT: 1
	.section	.text._ZL24rocblas_symm_hemm_kernelILb0ELb1ELi32E19rocblas_complex_numIdEPKS1_PS1_EvbiiT2_T3_lllS6_lllT4_llli,"axG",@progbits,_ZL24rocblas_symm_hemm_kernelILb0ELb1ELi32E19rocblas_complex_numIdEPKS1_PS1_EvbiiT2_T3_lllS6_lllT4_llli,comdat
	.globl	_ZL24rocblas_symm_hemm_kernelILb0ELb1ELi32E19rocblas_complex_numIdEPKS1_PS1_EvbiiT2_T3_lllS6_lllT4_llli ; -- Begin function _ZL24rocblas_symm_hemm_kernelILb0ELb1ELi32E19rocblas_complex_numIdEPKS1_PS1_EvbiiT2_T3_lllS6_lllT4_llli
	.p2align	8
	.type	_ZL24rocblas_symm_hemm_kernelILb0ELb1ELi32E19rocblas_complex_numIdEPKS1_PS1_EvbiiT2_T3_lllS6_lllT4_llli,@function
_ZL24rocblas_symm_hemm_kernelILb0ELb1ELi32E19rocblas_complex_numIdEPKS1_PS1_EvbiiT2_T3_lllS6_lllT4_llli: ; @_ZL24rocblas_symm_hemm_kernelILb0ELb1ELi32E19rocblas_complex_numIdEPKS1_PS1_EvbiiT2_T3_lllS6_lllT4_llli
; %bb.0:
	s_load_dwordx16 s[12:27], s[4:5], 0x10
	s_waitcnt lgkmcnt(0)
	v_cmp_eq_f64_e64 s[0:1], s[12:13], 0
	v_cmp_eq_f64_e64 s[2:3], s[14:15], 0
	s_and_b64 s[0:1], s[0:1], s[2:3]
	s_and_b64 vcc, exec, s[0:1]
	s_cbranch_vccnz .LBB23_13
; %bb.1:
	s_load_dwordx4 s[28:31], s[4:5], 0x0
	s_waitcnt lgkmcnt(0)
	s_add_i32 s0, s30, -1
	s_ashr_i32 s1, s0, 31
	s_lshr_b32 s1, s1, 27
	s_add_i32 s0, s0, s1
	s_ashr_i32 s31, s0, 5
	s_cmp_gt_i32 s7, s31
	s_cbranch_scc1 .LBB23_13
; %bb.2:
	s_mul_i32 s0, s23, s8
	s_mul_hi_u32 s1, s22, s8
	s_add_i32 s1, s1, s0
	s_mul_i32 s0, s22, s8
	s_lshl_b64 s[0:1], s[0:1], 4
	s_add_u32 s2, s16, s0
	s_addc_u32 s3, s17, s1
	s_lshl_b64 s[0:1], s[18:19], 4
	s_load_dwordx4 s[16:19], s[4:5], 0x70
	s_add_u32 s22, s2, s0
	s_addc_u32 s23, s3, s1
	s_bitcmp1_b32 s28, 0
	s_load_dwordx8 s[36:43], s[4:5], 0x50
	s_load_dword s28, s[4:5], 0x8c
	s_waitcnt lgkmcnt(0)
	s_mul_i32 s2, s19, s8
	s_mul_hi_u32 s3, s18, s8
	s_cselect_b64 s[0:1], -1, 0
	s_add_i32 s3, s3, s2
	s_mul_i32 s2, s18, s8
	s_lshl_b64 s[2:3], s[2:3], 4
	s_add_u32 s4, s40, s2
	s_addc_u32 s5, s41, s3
	s_lshl_b64 s[2:3], s[42:43], 4
	s_add_u32 s4, s4, s2
	s_addc_u32 s5, s5, s3
	s_mul_i32 s2, s39, s8
	s_mul_hi_u32 s3, s38, s8
	s_add_i32 s3, s3, s2
	s_mul_i32 s2, s38, s8
	s_lshl_b64 s[2:3], s[2:3], 4
	s_add_u32 s8, s24, s2
	s_addc_u32 s9, s25, s3
	s_lshl_b64 s[2:3], s[26:27], 4
	v_lshl_add_u32 v2, s6, 5, v0
	s_add_u32 s8, s8, s2
	v_ashrrev_i32_e32 v3, 31, v2
	s_addc_u32 s9, s9, s3
	v_cmp_gt_i32_e64 s[2:3], s29, v2
	v_lshlrev_b64 v[2:3], 4, v[2:3]
	v_mov_b32_e32 v4, s9
	v_add_co_u32_e32 v28, vcc, s8, v2
	s_cmp_gt_i32 s30, 0
	v_addc_co_u32_e32 v29, vcc, v4, v3, vcc
	v_lshlrev_b32_e32 v30, 9, v0
	v_lshlrev_b32_e32 v4, 4, v1
	v_add_u32_e32 v31, v30, v4
	v_or_b32_e32 v32, 0x4000, v4
	v_mov_b32_e32 v4, s5
	v_add_co_u32_e32 v34, vcc, s4, v2
	s_cselect_b64 s[4:5], -1, 0
	v_cndmask_b32_e64 v2, 0, 1, s[4:5]
	v_add_u32_e32 v33, v32, v30
	v_addc_co_u32_e32 v35, vcc, v4, v3, vcc
	v_cmp_ne_u32_e64 s[4:5], 1, v2
	s_branch .LBB23_4
.LBB23_3:                               ;   in Loop: Header=BB23_4 Depth=1
	s_add_i32 s7, s7, s28
	s_cmp_gt_i32 s7, s31
	s_cbranch_scc1 .LBB23_13
.LBB23_4:                               ; =>This Loop Header: Depth=1
                                        ;     Child Loop BB23_7 Depth 2
	s_and_b64 vcc, exec, s[4:5]
	s_cbranch_vccnz .LBB23_3
; %bb.5:                                ;   in Loop: Header=BB23_4 Depth=1
	v_lshl_add_u32 v36, s7, 5, v1
	v_ashrrev_i32_e32 v2, 31, v36
	v_mul_lo_u32 v4, s16, v2
	v_mul_lo_u32 v5, s17, v36
	v_mad_u64_u32 v[2:3], s[8:9], s16, v36, 0
	v_cmp_gt_i32_e32 vcc, s30, v36
	s_and_b64 s[8:9], s[2:3], vcc
	v_add3_u32 v3, v3, v4, v5
	v_lshlrev_b64 v[2:3], 4, v[2:3]
	s_mov_b32 s6, 0
	v_add_co_u32_e32 v14, vcc, v34, v2
	v_addc_co_u32_e32 v15, vcc, v35, v3, vcc
	s_branch .LBB23_7
.LBB23_6:                               ;   in Loop: Header=BB23_7 Depth=2
	s_or_b64 exec, exec, s[10:11]
	s_add_i32 s6, s6, 32
	s_cmp_ge_i32 s6, s30
	s_waitcnt vmcnt(0)
	s_barrier
	s_cbranch_scc1 .LBB23_3
.LBB23_7:                               ;   Parent Loop BB23_4 Depth=1
                                        ; =>  This Inner Loop Header: Depth=2
	v_add_u32_e32 v8, s6, v1
	v_cmp_gt_i32_e32 vcc, s30, v8
	v_mov_b32_e32 v2, 0
	v_mov_b32_e32 v4, 0
	;; [unrolled: 1-line block ×6, first 2 shown]
	s_and_b64 s[18:19], s[2:3], vcc
	s_and_saveexec_b64 s[10:11], s[18:19]
	s_cbranch_execz .LBB23_9
; %bb.8:                                ;   in Loop: Header=BB23_7 Depth=2
	v_ashrrev_i32_e32 v6, 31, v8
	v_mul_lo_u32 v7, s37, v8
	v_mad_u64_u32 v[4:5], s[18:19], s36, v8, 0
	v_mul_lo_u32 v6, s36, v6
	v_add3_u32 v5, v5, v6, v7
	v_lshlrev_b64 v[4:5], 4, v[4:5]
	v_add_co_u32_e32 v4, vcc, v28, v4
	v_addc_co_u32_e32 v5, vcc, v29, v5, vcc
	global_load_dwordx4 v[4:7], v[4:5], off
.LBB23_9:                               ;   in Loop: Header=BB23_7 Depth=2
	s_or_b64 exec, exec, s[10:11]
	s_waitcnt vmcnt(0)
	ds_write_b128 v31, v[4:7]
	v_add_u32_e32 v4, s6, v0
	v_cndmask_b32_e64 v5, v36, v4, s[0:1]
	v_cndmask_b32_e64 v6, v4, v36, s[0:1]
	v_cmp_gt_i32_e32 vcc, v5, v6
	v_cndmask_b32_e32 v6, v4, v36, vcc
	v_cndmask_b32_e32 v7, v36, v4, vcc
	v_max_i32_e32 v8, v6, v7
	v_mov_b32_e32 v4, 0
	v_mov_b32_e32 v5, 0
	v_cmp_gt_i32_e32 vcc, s30, v8
	s_and_saveexec_b64 s[10:11], vcc
	s_cbranch_execz .LBB23_11
; %bb.10:                               ;   in Loop: Header=BB23_7 Depth=2
	v_ashrrev_i32_e32 v4, 31, v7
	v_mul_lo_u32 v5, s21, v7
	v_mad_u64_u32 v[2:3], s[18:19], s20, v7, 0
	v_mul_lo_u32 v4, s20, v4
	v_ashrrev_i32_e32 v7, 31, v6
	v_add3_u32 v3, v3, v4, v5
	v_lshlrev_b64 v[2:3], 4, v[2:3]
	v_mov_b32_e32 v4, s23
	v_add_co_u32_e32 v5, vcc, s22, v2
	v_addc_co_u32_e32 v4, vcc, v4, v3, vcc
	v_lshlrev_b64 v[2:3], 4, v[6:7]
	v_add_co_u32_e32 v2, vcc, v5, v2
	v_addc_co_u32_e32 v3, vcc, v4, v3, vcc
	global_load_dwordx4 v[2:5], v[2:3], off
.LBB23_11:                              ;   in Loop: Header=BB23_7 Depth=2
	s_or_b64 exec, exec, s[10:11]
	s_waitcnt vmcnt(0)
	ds_write_b128 v33, v[2:5]
	s_waitcnt lgkmcnt(0)
	s_barrier
	s_and_saveexec_b64 s[10:11], s[8:9]
	s_cbranch_execz .LBB23_6
; %bb.12:                               ;   in Loop: Header=BB23_7 Depth=2
	ds_read_b128 v[2:5], v32
	ds_read_b128 v[6:9], v30
	ds_read_b128 v[10:13], v30 offset:16
	ds_read_b128 v[16:19], v32 offset:512
	;; [unrolled: 1-line block ×3, first 2 shown]
	s_waitcnt lgkmcnt(3)
	v_mul_f64 v[24:25], v[4:5], v[8:9]
	v_mul_f64 v[8:9], v[2:3], v[8:9]
	s_waitcnt lgkmcnt(1)
	v_mul_f64 v[37:38], v[18:19], v[12:13]
	v_mul_f64 v[12:13], v[16:17], v[12:13]
	v_fma_f64 v[39:40], v[2:3], v[6:7], -v[24:25]
	v_fma_f64 v[41:42], v[4:5], v[6:7], v[8:9]
	ds_read_b128 v[2:5], v30 offset:32
	ds_read_b128 v[6:9], v30 offset:48
	;; [unrolled: 1-line block ×3, first 2 shown]
	v_fma_f64 v[16:17], v[16:17], v[10:11], -v[37:38]
	v_fma_f64 v[10:11], v[18:19], v[10:11], v[12:13]
	s_waitcnt lgkmcnt(2)
	v_mul_f64 v[12:13], v[22:23], v[4:5]
	v_mul_f64 v[4:5], v[20:21], v[4:5]
	v_add_f64 v[18:19], v[39:40], 0
	v_add_f64 v[37:38], v[41:42], 0
	s_waitcnt lgkmcnt(0)
	v_mul_f64 v[39:40], v[26:27], v[8:9]
	v_mul_f64 v[41:42], v[24:25], v[8:9]
	v_fma_f64 v[12:13], v[20:21], v[2:3], -v[12:13]
	v_fma_f64 v[43:44], v[22:23], v[2:3], v[4:5]
	ds_read_b128 v[2:5], v30 offset:64
	v_add_f64 v[45:46], v[18:19], v[16:17]
	v_add_f64 v[37:38], v[37:38], v[10:11]
	ds_read_b128 v[8:11], v32 offset:2048
	ds_read_b128 v[16:19], v32 offset:2560
	v_fma_f64 v[24:25], v[24:25], v[6:7], -v[39:40]
	v_fma_f64 v[6:7], v[26:27], v[6:7], v[41:42]
	ds_read_b128 v[20:23], v30 offset:80
	s_waitcnt lgkmcnt(2)
	v_mul_f64 v[26:27], v[10:11], v[4:5]
	v_mul_f64 v[4:5], v[8:9], v[4:5]
	v_add_f64 v[12:13], v[45:46], v[12:13]
	v_add_f64 v[37:38], v[37:38], v[43:44]
	v_fma_f64 v[26:27], v[8:9], v[2:3], -v[26:27]
	v_fma_f64 v[41:42], v[10:11], v[2:3], v[4:5]
	ds_read_b128 v[2:5], v30 offset:96
	s_waitcnt lgkmcnt(1)
	v_mul_f64 v[39:40], v[18:19], v[22:23]
	v_mul_f64 v[22:23], v[16:17], v[22:23]
	v_add_f64 v[24:25], v[12:13], v[24:25]
	v_add_f64 v[37:38], v[37:38], v[6:7]
	ds_read_b128 v[6:9], v32 offset:3072
	ds_read_b128 v[10:13], v32 offset:3584
	v_fma_f64 v[39:40], v[16:17], v[20:21], -v[39:40]
	v_fma_f64 v[20:21], v[18:19], v[20:21], v[22:23]
	s_waitcnt lgkmcnt(1)
	v_mul_f64 v[22:23], v[8:9], v[4:5]
	v_mul_f64 v[4:5], v[6:7], v[4:5]
	v_add_f64 v[24:25], v[24:25], v[26:27]
	v_add_f64 v[26:27], v[37:38], v[41:42]
	ds_read_b128 v[16:19], v30 offset:112
	v_fma_f64 v[22:23], v[6:7], v[2:3], -v[22:23]
	v_fma_f64 v[43:44], v[8:9], v[2:3], v[4:5]
	ds_read_b128 v[2:5], v30 offset:128
	s_waitcnt lgkmcnt(1)
	v_mul_f64 v[37:38], v[12:13], v[18:19]
	v_mul_f64 v[41:42], v[10:11], v[18:19]
	v_add_f64 v[24:25], v[24:25], v[39:40]
	v_add_f64 v[26:27], v[26:27], v[20:21]
	ds_read_b128 v[6:9], v32 offset:4096
	ds_read_b128 v[18:21], v32 offset:4608
	s_waitcnt lgkmcnt(1)
	v_mul_f64 v[39:40], v[8:9], v[4:5]
	v_mul_f64 v[4:5], v[6:7], v[4:5]
	v_fma_f64 v[37:38], v[10:11], v[16:17], -v[37:38]
	v_fma_f64 v[16:17], v[12:13], v[16:17], v[41:42]
	ds_read_b128 v[10:13], v30 offset:144
	v_add_f64 v[22:23], v[24:25], v[22:23]
	v_add_f64 v[24:25], v[26:27], v[43:44]
	v_fma_f64 v[39:40], v[6:7], v[2:3], -v[39:40]
	v_fma_f64 v[41:42], v[8:9], v[2:3], v[4:5]
	ds_read_b128 v[2:5], v30 offset:160
	s_waitcnt lgkmcnt(1)
	v_mul_f64 v[26:27], v[20:21], v[12:13]
	v_mul_f64 v[12:13], v[18:19], v[12:13]
	v_add_f64 v[37:38], v[22:23], v[37:38]
	v_add_f64 v[16:17], v[24:25], v[16:17]
	ds_read_b128 v[6:9], v32 offset:5120
	ds_read_b128 v[22:25], v32 offset:5632
	v_fma_f64 v[18:19], v[18:19], v[10:11], -v[26:27]
	s_waitcnt lgkmcnt(1)
	v_mul_f64 v[26:27], v[8:9], v[4:5]
	v_mul_f64 v[4:5], v[6:7], v[4:5]
	v_fma_f64 v[20:21], v[20:21], v[10:11], v[12:13]
	ds_read_b128 v[10:13], v30 offset:176
	v_add_f64 v[37:38], v[37:38], v[39:40]
	v_add_f64 v[16:17], v[16:17], v[41:42]
	v_fma_f64 v[26:27], v[6:7], v[2:3], -v[26:27]
	v_fma_f64 v[41:42], v[8:9], v[2:3], v[4:5]
	ds_read_b128 v[2:5], v30 offset:192
	s_waitcnt lgkmcnt(1)
	v_mul_f64 v[39:40], v[24:25], v[12:13]
	v_mul_f64 v[12:13], v[22:23], v[12:13]
	v_add_f64 v[37:38], v[37:38], v[18:19]
	v_add_f64 v[20:21], v[16:17], v[20:21]
	ds_read_b128 v[6:9], v32 offset:6144
	ds_read_b128 v[16:19], v32 offset:6656
	v_fma_f64 v[22:23], v[22:23], v[10:11], -v[39:40]
	s_waitcnt lgkmcnt(1)
	v_mul_f64 v[39:40], v[8:9], v[4:5]
	v_mul_f64 v[4:5], v[6:7], v[4:5]
	;; [unrolled: 18-line block ×8, first 2 shown]
	v_fma_f64 v[22:23], v[22:23], v[10:11], v[12:13]
	ds_read_b128 v[10:13], v30 offset:400
	v_add_f64 v[26:27], v[26:27], v[37:38]
	v_add_f64 v[24:25], v[24:25], v[41:42]
	v_fma_f64 v[43:44], v[6:7], v[2:3], -v[39:40]
	v_fma_f64 v[45:46], v[8:9], v[2:3], v[4:5]
	ds_read_b128 v[2:5], v30 offset:416
	s_waitcnt lgkmcnt(1)
	v_mul_f64 v[41:42], v[18:19], v[12:13]
	v_mul_f64 v[12:13], v[16:17], v[12:13]
	ds_read_b128 v[6:9], v32 offset:13312
	ds_read_b128 v[37:40], v32 offset:13824
	v_add_f64 v[20:21], v[26:27], v[20:21]
	v_add_f64 v[22:23], v[24:25], v[22:23]
	ds_read_b128 v[24:27], v30 offset:432
	v_fma_f64 v[41:42], v[16:17], v[10:11], -v[41:42]
	v_fma_f64 v[10:11], v[18:19], v[10:11], v[12:13]
	s_waitcnt lgkmcnt(2)
	v_mul_f64 v[12:13], v[8:9], v[4:5]
	v_mul_f64 v[4:5], v[6:7], v[4:5]
	v_add_f64 v[20:21], v[20:21], v[43:44]
	v_add_f64 v[43:44], v[22:23], v[45:46]
	v_fma_f64 v[18:19], v[6:7], v[2:3], -v[12:13]
	v_fma_f64 v[16:17], v[8:9], v[2:3], v[4:5]
	ds_read_b128 v[2:5], v30 offset:448
	s_waitcnt lgkmcnt(1)
	v_mul_f64 v[45:46], v[39:40], v[26:27]
	v_mul_f64 v[47:48], v[37:38], v[26:27]
	v_add_f64 v[22:23], v[20:21], v[41:42]
	v_add_f64 v[20:21], v[43:44], v[10:11]
	ds_read_b128 v[6:9], v32 offset:14336
	ds_read_b128 v[10:13], v32 offset:14848
	;; [unrolled: 1-line block ×3, first 2 shown]
	v_fma_f64 v[26:27], v[37:38], v[24:25], -v[45:46]
	v_fma_f64 v[24:25], v[39:40], v[24:25], v[47:48]
	global_load_dwordx4 v[37:40], v[14:15], off
	v_add_f64 v[18:19], v[22:23], v[18:19]
	s_waitcnt lgkmcnt(2)
	v_mul_f64 v[22:23], v[8:9], v[4:5]
	v_add_f64 v[16:17], v[20:21], v[16:17]
	v_mul_f64 v[4:5], v[6:7], v[4:5]
	v_add_f64 v[26:27], v[18:19], v[26:27]
	v_fma_f64 v[20:21], v[6:7], v[2:3], -v[22:23]
	v_add_f64 v[24:25], v[16:17], v[24:25]
	v_fma_f64 v[22:23], v[8:9], v[2:3], v[4:5]
	ds_read_b128 v[6:9], v30 offset:480
	s_waitcnt lgkmcnt(1)
	v_mul_f64 v[45:46], v[12:13], v[43:44]
	v_mul_f64 v[43:44], v[10:11], v[43:44]
	ds_read_b128 v[2:5], v32 offset:15360
	v_add_f64 v[20:21], v[26:27], v[20:21]
	v_add_f64 v[22:23], v[24:25], v[22:23]
	s_waitcnt lgkmcnt(0)
	v_mul_f64 v[26:27], v[4:5], v[8:9]
	v_fma_f64 v[45:46], v[10:11], v[41:42], -v[45:46]
	v_fma_f64 v[41:42], v[12:13], v[41:42], v[43:44]
	v_mul_f64 v[8:9], v[2:3], v[8:9]
	ds_read_b128 v[10:13], v32 offset:15872
	ds_read_b128 v[16:19], v30 offset:496
	v_fma_f64 v[2:3], v[2:3], v[6:7], -v[26:27]
	v_add_f64 v[20:21], v[20:21], v[45:46]
	v_fma_f64 v[4:5], v[4:5], v[6:7], v[8:9]
	s_waitcnt lgkmcnt(0)
	v_mul_f64 v[6:7], v[12:13], v[18:19]
	v_mul_f64 v[8:9], v[10:11], v[18:19]
	v_add_f64 v[18:19], v[22:23], v[41:42]
	v_add_f64 v[2:3], v[20:21], v[2:3]
	v_fma_f64 v[6:7], v[10:11], v[16:17], -v[6:7]
	v_fma_f64 v[8:9], v[12:13], v[16:17], v[8:9]
	v_add_f64 v[4:5], v[18:19], v[4:5]
	v_add_f64 v[2:3], v[2:3], v[6:7]
	;; [unrolled: 1-line block ×3, first 2 shown]
	v_mul_f64 v[8:9], s[14:15], v[2:3]
	v_mul_f64 v[6:7], s[14:15], v[4:5]
	v_fma_f64 v[4:5], s[12:13], v[4:5], v[8:9]
	v_fma_f64 v[2:3], s[12:13], v[2:3], -v[6:7]
	s_waitcnt vmcnt(0)
	v_add_f64 v[2:3], v[37:38], v[2:3]
	v_add_f64 v[4:5], v[39:40], v[4:5]
	global_store_dwordx4 v[14:15], v[2:5], off
	s_branch .LBB23_6
.LBB23_13:
	s_endpgm
	.section	.rodata,"a",@progbits
	.p2align	6, 0x0
	.amdhsa_kernel _ZL24rocblas_symm_hemm_kernelILb0ELb1ELi32E19rocblas_complex_numIdEPKS1_PS1_EvbiiT2_T3_lllS6_lllT4_llli
		.amdhsa_group_segment_fixed_size 32768
		.amdhsa_private_segment_fixed_size 0
		.amdhsa_kernarg_size 392
		.amdhsa_user_sgpr_count 6
		.amdhsa_user_sgpr_private_segment_buffer 1
		.amdhsa_user_sgpr_dispatch_ptr 0
		.amdhsa_user_sgpr_queue_ptr 0
		.amdhsa_user_sgpr_kernarg_segment_ptr 1
		.amdhsa_user_sgpr_dispatch_id 0
		.amdhsa_user_sgpr_flat_scratch_init 0
		.amdhsa_user_sgpr_private_segment_size 0
		.amdhsa_uses_dynamic_stack 0
		.amdhsa_system_sgpr_private_segment_wavefront_offset 0
		.amdhsa_system_sgpr_workgroup_id_x 1
		.amdhsa_system_sgpr_workgroup_id_y 1
		.amdhsa_system_sgpr_workgroup_id_z 1
		.amdhsa_system_sgpr_workgroup_info 0
		.amdhsa_system_vgpr_workitem_id 1
		.amdhsa_next_free_vgpr 49
		.amdhsa_next_free_sgpr 61
		.amdhsa_reserve_vcc 1
		.amdhsa_reserve_flat_scratch 0
		.amdhsa_float_round_mode_32 0
		.amdhsa_float_round_mode_16_64 0
		.amdhsa_float_denorm_mode_32 3
		.amdhsa_float_denorm_mode_16_64 3
		.amdhsa_dx10_clamp 1
		.amdhsa_ieee_mode 1
		.amdhsa_fp16_overflow 0
		.amdhsa_exception_fp_ieee_invalid_op 0
		.amdhsa_exception_fp_denorm_src 0
		.amdhsa_exception_fp_ieee_div_zero 0
		.amdhsa_exception_fp_ieee_overflow 0
		.amdhsa_exception_fp_ieee_underflow 0
		.amdhsa_exception_fp_ieee_inexact 0
		.amdhsa_exception_int_div_zero 0
	.end_amdhsa_kernel
	.section	.text._ZL24rocblas_symm_hemm_kernelILb0ELb1ELi32E19rocblas_complex_numIdEPKS1_PS1_EvbiiT2_T3_lllS6_lllT4_llli,"axG",@progbits,_ZL24rocblas_symm_hemm_kernelILb0ELb1ELi32E19rocblas_complex_numIdEPKS1_PS1_EvbiiT2_T3_lllS6_lllT4_llli,comdat
.Lfunc_end23:
	.size	_ZL24rocblas_symm_hemm_kernelILb0ELb1ELi32E19rocblas_complex_numIdEPKS1_PS1_EvbiiT2_T3_lllS6_lllT4_llli, .Lfunc_end23-_ZL24rocblas_symm_hemm_kernelILb0ELb1ELi32E19rocblas_complex_numIdEPKS1_PS1_EvbiiT2_T3_lllS6_lllT4_llli
                                        ; -- End function
	.set _ZL24rocblas_symm_hemm_kernelILb0ELb1ELi32E19rocblas_complex_numIdEPKS1_PS1_EvbiiT2_T3_lllS6_lllT4_llli.num_vgpr, 49
	.set _ZL24rocblas_symm_hemm_kernelILb0ELb1ELi32E19rocblas_complex_numIdEPKS1_PS1_EvbiiT2_T3_lllS6_lllT4_llli.num_agpr, 0
	.set _ZL24rocblas_symm_hemm_kernelILb0ELb1ELi32E19rocblas_complex_numIdEPKS1_PS1_EvbiiT2_T3_lllS6_lllT4_llli.numbered_sgpr, 44
	.set _ZL24rocblas_symm_hemm_kernelILb0ELb1ELi32E19rocblas_complex_numIdEPKS1_PS1_EvbiiT2_T3_lllS6_lllT4_llli.num_named_barrier, 0
	.set _ZL24rocblas_symm_hemm_kernelILb0ELb1ELi32E19rocblas_complex_numIdEPKS1_PS1_EvbiiT2_T3_lllS6_lllT4_llli.private_seg_size, 0
	.set _ZL24rocblas_symm_hemm_kernelILb0ELb1ELi32E19rocblas_complex_numIdEPKS1_PS1_EvbiiT2_T3_lllS6_lllT4_llli.uses_vcc, 1
	.set _ZL24rocblas_symm_hemm_kernelILb0ELb1ELi32E19rocblas_complex_numIdEPKS1_PS1_EvbiiT2_T3_lllS6_lllT4_llli.uses_flat_scratch, 0
	.set _ZL24rocblas_symm_hemm_kernelILb0ELb1ELi32E19rocblas_complex_numIdEPKS1_PS1_EvbiiT2_T3_lllS6_lllT4_llli.has_dyn_sized_stack, 0
	.set _ZL24rocblas_symm_hemm_kernelILb0ELb1ELi32E19rocblas_complex_numIdEPKS1_PS1_EvbiiT2_T3_lllS6_lllT4_llli.has_recursion, 0
	.set _ZL24rocblas_symm_hemm_kernelILb0ELb1ELi32E19rocblas_complex_numIdEPKS1_PS1_EvbiiT2_T3_lllS6_lllT4_llli.has_indirect_call, 0
	.section	.AMDGPU.csdata,"",@progbits
; Kernel info:
; codeLenInByte = 3004
; TotalNumSgprs: 48
; NumVgprs: 49
; ScratchSize: 0
; MemoryBound: 1
; FloatMode: 240
; IeeeMode: 1
; LDSByteSize: 32768 bytes/workgroup (compile time only)
; SGPRBlocks: 8
; VGPRBlocks: 12
; NumSGPRsForWavesPerEU: 65
; NumVGPRsForWavesPerEU: 49
; Occupancy: 4
; WaveLimiterHint : 0
; COMPUTE_PGM_RSRC2:SCRATCH_EN: 0
; COMPUTE_PGM_RSRC2:USER_SGPR: 6
; COMPUTE_PGM_RSRC2:TRAP_HANDLER: 0
; COMPUTE_PGM_RSRC2:TGID_X_EN: 1
; COMPUTE_PGM_RSRC2:TGID_Y_EN: 1
; COMPUTE_PGM_RSRC2:TGID_Z_EN: 1
; COMPUTE_PGM_RSRC2:TIDIG_COMP_CNT: 1
	.section	.text._ZL24rocblas_symm_hemm_kernelILb1ELb0ELi32EPK19rocblas_complex_numIfES3_PS1_EvbiiT2_T3_lllS6_lllT4_llli,"axG",@progbits,_ZL24rocblas_symm_hemm_kernelILb1ELb0ELi32EPK19rocblas_complex_numIfES3_PS1_EvbiiT2_T3_lllS6_lllT4_llli,comdat
	.globl	_ZL24rocblas_symm_hemm_kernelILb1ELb0ELi32EPK19rocblas_complex_numIfES3_PS1_EvbiiT2_T3_lllS6_lllT4_llli ; -- Begin function _ZL24rocblas_symm_hemm_kernelILb1ELb0ELi32EPK19rocblas_complex_numIfES3_PS1_EvbiiT2_T3_lllS6_lllT4_llli
	.p2align	8
	.type	_ZL24rocblas_symm_hemm_kernelILb1ELb0ELi32EPK19rocblas_complex_numIfES3_PS1_EvbiiT2_T3_lllS6_lllT4_llli,@function
_ZL24rocblas_symm_hemm_kernelILb1ELb0ELi32EPK19rocblas_complex_numIfES3_PS1_EvbiiT2_T3_lllS6_lllT4_llli: ; @_ZL24rocblas_symm_hemm_kernelILb1ELb0ELi32EPK19rocblas_complex_numIfES3_PS1_EvbiiT2_T3_lllS6_lllT4_llli
; %bb.0:
	s_load_dwordx16 s[12:27], s[4:5], 0x10
	s_waitcnt lgkmcnt(0)
	s_load_dwordx2 s[34:35], s[12:13], 0x0
	s_waitcnt lgkmcnt(0)
	v_cmp_eq_f32_e64 s[0:1], s34, 0
	v_cmp_eq_f32_e64 s[2:3], s35, 0
	s_and_b64 s[0:1], s[0:1], s[2:3]
	s_and_b64 vcc, exec, s[0:1]
	s_cbranch_vccnz .LBB24_21
; %bb.1:
	s_load_dwordx4 s[28:31], s[4:5], 0x0
	s_waitcnt lgkmcnt(0)
	s_add_i32 s0, s30, -1
	s_ashr_i32 s1, s0, 31
	s_lshr_b32 s1, s1, 27
	s_add_i32 s0, s0, s1
	s_ashr_i32 s31, s0, 5
	s_cmp_gt_i32 s7, s31
	s_cbranch_scc1 .LBB24_21
; %bb.2:
	s_load_dwordx8 s[36:43], s[4:5], 0x50
	s_load_dwordx2 s[2:3], s[4:5], 0x70
	v_lshl_add_u32 v10, s6, 5, v0
	v_ashrrev_i32_e32 v11, 31, v10
	v_mul_lo_u32 v7, s18, v11
	s_waitcnt lgkmcnt(0)
	s_mul_i32 s1, s37, s8
	s_mul_hi_u32 s9, s36, s8
	s_mul_i32 s0, s36, s8
	s_add_i32 s1, s9, s1
	s_lshl_b64 s[0:1], s[0:1], 3
	s_add_u32 s9, s22, s0
	s_addc_u32 s10, s23, s1
	s_lshl_b64 s[0:1], s[24:25], 3
	s_add_u32 s22, s9, s0
	s_addc_u32 s23, s10, s1
	s_bitcmp1_b32 s28, 0
	s_load_dword s24, s[4:5], 0x84
	s_mul_i32 s3, s3, s8
	s_mul_hi_u32 s4, s2, s8
	s_cselect_b64 s[0:1], -1, 0
	s_add_i32 s3, s4, s3
	s_mul_i32 s2, s2, s8
	s_lshl_b64 s[2:3], s[2:3], 3
	s_add_u32 s4, s38, s2
	s_addc_u32 s5, s39, s3
	s_lshl_b64 s[2:3], s[40:41], 3
	s_add_u32 s4, s4, s2
	s_addc_u32 s5, s5, s3
	s_mul_i32 s2, s21, s8
	s_mul_hi_u32 s3, s20, s8
	s_add_i32 s3, s3, s2
	s_mul_i32 s2, s20, s8
	s_lshl_b64 s[2:3], s[2:3], 3
	s_add_u32 s8, s14, s2
	s_addc_u32 s9, s15, s3
	s_lshl_b64 s[2:3], s[16:17], 3
	s_add_u32 s8, s8, s2
	s_addc_u32 s9, s9, s3
	v_mul_lo_u32 v8, s19, v10
	v_mad_u64_u32 v[4:5], s[2:3], s18, v10, 0
	v_lshlrev_b64 v[2:3], 3, v[10:11]
	v_mov_b32_e32 v6, s9
	v_add3_u32 v5, v5, v7, v8
	v_add_co_u32_e32 v15, vcc, s8, v2
	v_lshlrev_b64 v[4:5], 3, v[4:5]
	v_addc_co_u32_e32 v16, vcc, v6, v3, vcc
	v_add_co_u32_e32 v17, vcc, s8, v4
	v_addc_co_u32_e32 v18, vcc, v6, v5, vcc
	v_lshlrev_b32_e32 v19, 8, v0
	v_lshlrev_b32_e32 v6, 3, v1
	s_cmp_gt_i32 s29, 0
	v_add_u32_e32 v20, v19, v6
	v_or_b32_e32 v21, 0x2000, v6
	v_mov_b32_e32 v6, s5
	v_add_co_u32_e32 v22, vcc, s4, v2
	v_addc_co_u32_e32 v23, vcc, v6, v3, vcc
	s_cselect_b64 s[4:5], -1, 0
	v_add_co_u32_e32 v11, vcc, v15, v4
	v_cndmask_b32_e64 v2, 0, 1, s[4:5]
	v_cmp_gt_i32_e64 s[2:3], s29, v10
	v_addc_co_u32_e32 v12, vcc, v16, v5, vcc
	v_cmp_ne_u32_e64 s[4:5], 1, v2
	s_branch .LBB24_4
.LBB24_3:                               ;   in Loop: Header=BB24_4 Depth=1
	s_waitcnt lgkmcnt(0)
	s_add_i32 s7, s7, s24
	s_cmp_gt_i32 s7, s31
	s_cbranch_scc1 .LBB24_21
.LBB24_4:                               ; =>This Loop Header: Depth=1
                                        ;     Child Loop BB24_7 Depth 2
	s_and_b64 vcc, exec, s[4:5]
	s_cbranch_vccnz .LBB24_3
; %bb.5:                                ;   in Loop: Header=BB24_4 Depth=1
	v_lshl_add_u32 v4, s7, 5, v1
	v_ashrrev_i32_e32 v5, 31, v4
	v_mul_lo_u32 v6, s26, v5
	v_mul_lo_u32 v7, s27, v4
	v_mad_u64_u32 v[2:3], s[8:9], s26, v4, 0
	v_cmp_gt_i32_e32 vcc, s30, v4
	v_mul_lo_u32 v8, s43, v4
	v_add3_u32 v3, v3, v6, v7
	v_mul_lo_u32 v7, s42, v5
	v_mad_u64_u32 v[4:5], s[8:9], s42, v4, 0
	v_lshlrev_b64 v[2:3], 3, v[2:3]
	v_mov_b32_e32 v6, s23
	v_add_co_u32_e64 v24, s[8:9], s22, v2
	v_add3_u32 v5, v5, v7, v8
	v_addc_co_u32_e64 v25, s[8:9], v6, v3, s[8:9]
	v_lshlrev_b64 v[2:3], 3, v[4:5]
	s_and_b64 s[12:13], s[2:3], vcc
	v_add_co_u32_e64 v13, s[8:9], v22, v2
	v_addc_co_u32_e64 v14, s[8:9], v23, v3, s[8:9]
	s_mov_b32 s6, 0
	s_branch .LBB24_7
.LBB24_6:                               ;   in Loop: Header=BB24_7 Depth=2
	s_or_b64 exec, exec, s[8:9]
	s_add_i32 s6, s6, 32
	s_cmp_ge_i32 s6, s29
	s_waitcnt vmcnt(0)
	s_barrier
	s_cbranch_scc1 .LBB24_3
.LBB24_7:                               ;   Parent Loop BB24_4 Depth=1
                                        ; =>  This Inner Loop Header: Depth=2
	v_add_u32_e32 v5, s6, v1
	v_cndmask_b32_e64 v2, v5, v10, s[0:1]
	v_cndmask_b32_e64 v3, v10, v5, s[0:1]
	v_cmp_gt_i32_e64 s[10:11], v2, v3
	v_cmp_le_i32_e64 s[8:9], v2, v3
	v_cndmask_b32_e64 v2, v10, v5, s[10:11]
	v_cndmask_b32_e64 v3, v5, v10, s[10:11]
	v_max_i32_e32 v2, v2, v3
	v_cmp_gt_i32_e64 s[10:11], s29, v2
	v_mov_b32_e32 v2, 0
	v_mov_b32_e32 v3, 0
	;; [unrolled: 1-line block ×3, first 2 shown]
	s_and_saveexec_b64 s[14:15], s[10:11]
	s_cbranch_execz .LBB24_17
; %bb.8:                                ;   in Loop: Header=BB24_7 Depth=2
                                        ; implicit-def: $vgpr4
	s_and_saveexec_b64 s[10:11], s[8:9]
	s_xor_b64 s[10:11], exec, s[10:11]
	s_cbranch_execz .LBB24_14
; %bb.9:                                ;   in Loop: Header=BB24_7 Depth=2
	v_cmp_ne_u32_e64 s[8:9], v5, v10
                                        ; implicit-def: $vgpr4
	s_and_saveexec_b64 s[16:17], s[8:9]
	s_xor_b64 s[16:17], exec, s[16:17]
	s_cbranch_execz .LBB24_11
; %bb.10:                               ;   in Loop: Header=BB24_7 Depth=2
	v_ashrrev_i32_e32 v6, 31, v5
	v_mul_lo_u32 v7, s19, v5
	v_mad_u64_u32 v[3:4], s[8:9], s18, v5, 0
	v_mul_lo_u32 v5, s18, v6
	v_add3_u32 v4, v4, v5, v7
	v_lshlrev_b64 v[3:4], 3, v[3:4]
	v_add_co_u32_e64 v3, s[8:9], v15, v3
	v_addc_co_u32_e64 v4, s[8:9], v16, v4, s[8:9]
	global_load_dwordx2 v[3:4], v[3:4], off
.LBB24_11:                              ;   in Loop: Header=BB24_7 Depth=2
	s_andn2_saveexec_b64 s[8:9], s[16:17]
	s_cbranch_execz .LBB24_13
; %bb.12:                               ;   in Loop: Header=BB24_7 Depth=2
	global_load_dword v3, v[11:12], off
	s_waitcnt vmcnt(1)
	v_mov_b32_e32 v4, 0
.LBB24_13:                              ;   in Loop: Header=BB24_7 Depth=2
	s_or_b64 exec, exec, s[8:9]
                                        ; implicit-def: $vgpr5
.LBB24_14:                              ;   in Loop: Header=BB24_7 Depth=2
	s_andn2_saveexec_b64 s[10:11], s[10:11]
	s_cbranch_execz .LBB24_16
; %bb.15:                               ;   in Loop: Header=BB24_7 Depth=2
	v_ashrrev_i32_e32 v6, 31, v5
	s_waitcnt vmcnt(0)
	v_lshlrev_b64 v[3:4], 3, v[5:6]
	v_add_co_u32_e64 v3, s[8:9], v17, v3
	v_addc_co_u32_e64 v4, s[8:9], v18, v4, s[8:9]
	global_load_dwordx2 v[3:4], v[3:4], off
	s_waitcnt vmcnt(0)
	v_xor_b32_e32 v4, 0x80000000, v4
.LBB24_16:                              ;   in Loop: Header=BB24_7 Depth=2
	s_or_b64 exec, exec, s[10:11]
.LBB24_17:                              ;   in Loop: Header=BB24_7 Depth=2
	s_or_b64 exec, exec, s[14:15]
	s_waitcnt vmcnt(0)
	ds_write_b64 v20, v[3:4]
	v_add_u32_e32 v4, s6, v0
	v_cmp_gt_i32_e64 s[8:9], s29, v4
	s_and_b64 s[8:9], s[8:9], vcc
	v_mov_b32_e32 v3, 0
	s_and_saveexec_b64 s[10:11], s[8:9]
	s_cbranch_execz .LBB24_19
; %bb.18:                               ;   in Loop: Header=BB24_7 Depth=2
	v_ashrrev_i32_e32 v5, 31, v4
	v_lshlrev_b64 v[2:3], 3, v[4:5]
	v_add_co_u32_e64 v2, s[8:9], v24, v2
	v_addc_co_u32_e64 v3, s[8:9], v25, v3, s[8:9]
	global_load_dwordx2 v[2:3], v[2:3], off
.LBB24_19:                              ;   in Loop: Header=BB24_7 Depth=2
	s_or_b64 exec, exec, s[10:11]
	v_add_u32_e32 v4, v21, v19
	s_waitcnt vmcnt(0)
	ds_write_b64 v4, v[2:3]
	s_waitcnt lgkmcnt(0)
	s_barrier
	s_and_saveexec_b64 s[8:9], s[12:13]
	s_cbranch_execz .LBB24_6
; %bb.20:                               ;   in Loop: Header=BB24_7 Depth=2
	ds_read2_b64 v[2:5], v21 offset1:32
	ds_read_b128 v[6:9], v19
	ds_read_b128 v[26:29], v19 offset:16
	ds_read_b128 v[30:33], v19 offset:32
	;; [unrolled: 1-line block ×3, first 2 shown]
	s_waitcnt lgkmcnt(3)
	v_mul_f32_e32 v38, v3, v7
	v_fma_f32 v38, v2, v6, -v38
	v_mul_f32_e32 v7, v2, v7
	v_mul_f32_e32 v2, v5, v9
	;; [unrolled: 1-line block ×3, first 2 shown]
	v_fmac_f32_e32 v7, v3, v6
	v_fma_f32 v6, v4, v8, -v2
	v_fmac_f32_e32 v9, v5, v8
	ds_read2_b64 v[2:5], v21 offset0:64 offset1:96
	v_add_f32_e32 v8, 0, v38
	v_add_f32_e32 v6, v8, v6
	;; [unrolled: 1-line block ×4, first 2 shown]
	s_waitcnt lgkmcnt(0)
	v_mul_f32_e32 v8, v3, v27
	v_fma_f32 v8, v2, v26, -v8
	v_mul_f32_e32 v2, v2, v27
	v_fmac_f32_e32 v2, v3, v26
	v_add_f32_e32 v3, v6, v8
	v_mul_f32_e32 v6, v5, v29
	v_add_f32_e32 v2, v7, v2
	v_fma_f32 v26, v4, v28, -v6
	ds_read2_b64 v[6:9], v21 offset0:128 offset1:160
	v_mul_f32_e32 v4, v4, v29
	v_fmac_f32_e32 v4, v5, v28
	v_add_f32_e32 v2, v2, v4
	v_add_f32_e32 v3, v3, v26
	s_waitcnt lgkmcnt(0)
	v_mul_f32_e32 v5, v6, v31
	v_mul_f32_e32 v4, v7, v31
	v_fmac_f32_e32 v5, v7, v30
	v_fma_f32 v4, v6, v30, -v4
	v_add_f32_e32 v7, v2, v5
	v_mul_f32_e32 v2, v9, v33
	v_add_f32_e32 v6, v3, v4
	v_fma_f32 v26, v8, v32, -v2
	ds_read2_b64 v[2:5], v21 offset0:192 offset1:224
	v_mul_f32_e32 v8, v8, v33
	v_fmac_f32_e32 v8, v9, v32
	v_add_f32_e32 v7, v7, v8
	v_add_f32_e32 v6, v6, v26
	s_waitcnt lgkmcnt(0)
	v_mul_f32_e32 v8, v3, v35
	v_fma_f32 v8, v2, v34, -v8
	v_mul_f32_e32 v2, v2, v35
	v_fmac_f32_e32 v2, v3, v34
	v_add_f32_e32 v3, v6, v8
	v_mul_f32_e32 v6, v5, v37
	v_add_u32_e32 v34, 0x800, v21
	v_add_f32_e32 v2, v7, v2
	v_fma_f32 v30, v4, v36, -v6
	ds_read_b128 v[6:9], v19 offset:64
	ds_read2_b64 v[26:29], v34 offset1:32
	v_mul_f32_e32 v4, v4, v37
	v_fmac_f32_e32 v4, v5, v36
	v_add_f32_e32 v30, v3, v30
	v_add_f32_e32 v31, v2, v4
	ds_read_b128 v[2:5], v19 offset:80
	s_waitcnt lgkmcnt(1)
	v_mul_f32_e32 v32, v27, v7
	v_mul_f32_e32 v7, v26, v7
	v_fma_f32 v32, v26, v6, -v32
	v_fmac_f32_e32 v7, v27, v6
	v_add_f32_e32 v6, v30, v32
	v_add_f32_e32 v7, v31, v7
	ds_read2_b64 v[30:33], v34 offset0:64 offset1:96
	v_mul_f32_e32 v26, v29, v9
	v_mul_f32_e32 v9, v28, v9
	v_fma_f32 v26, v28, v8, -v26
	v_fmac_f32_e32 v9, v29, v8
	s_waitcnt lgkmcnt(0)
	v_mul_f32_e32 v8, v31, v3
	v_add_f32_e32 v6, v6, v26
	v_fma_f32 v8, v30, v2, -v8
	v_mul_f32_e32 v3, v30, v3
	v_add_f32_e32 v7, v7, v9
	v_fmac_f32_e32 v3, v31, v2
	v_add_f32_e32 v2, v6, v8
	v_mul_f32_e32 v6, v33, v5
	v_add_f32_e32 v3, v7, v3
	v_fma_f32 v9, v32, v4, -v6
	v_mul_f32_e32 v30, v32, v5
	ds_read_b128 v[5:8], v19 offset:96
	ds_read2_b64 v[26:29], v34 offset0:128 offset1:160
	v_fmac_f32_e32 v30, v33, v4
	v_add_f32_e32 v2, v2, v9
	v_add_f32_e32 v3, v3, v30
	ds_read_b128 v[30:33], v19 offset:112
	s_waitcnt lgkmcnt(1)
	v_mul_f32_e32 v4, v27, v6
	v_fma_f32 v4, v26, v5, -v4
	v_mul_f32_e32 v6, v26, v6
	v_fmac_f32_e32 v6, v27, v5
	v_add_f32_e32 v9, v2, v4
	v_mul_f32_e32 v2, v29, v8
	v_add_f32_e32 v6, v3, v6
	v_fma_f32 v26, v28, v7, -v2
	ds_read2_b64 v[2:5], v34 offset0:192 offset1:224
	v_mul_f32_e32 v8, v28, v8
	v_fmac_f32_e32 v8, v29, v7
	v_add_f32_e32 v6, v6, v8
	v_add_f32_e32 v7, v9, v26
	s_waitcnt lgkmcnt(0)
	v_mul_f32_e32 v8, v3, v31
	v_fma_f32 v8, v2, v30, -v8
	v_mul_f32_e32 v2, v2, v31
	v_fmac_f32_e32 v2, v3, v30
	v_add_f32_e32 v2, v6, v2
	v_mul_f32_e32 v6, v5, v33
	v_add_u32_e32 v26, 0x1000, v21
	v_add_f32_e32 v3, v7, v8
	v_fma_f32 v31, v4, v32, -v6
	ds_read_b128 v[6:9], v19 offset:128
	ds_read2_b64 v[27:30], v26 offset1:32
	v_mul_f32_e32 v4, v4, v33
	v_fmac_f32_e32 v4, v5, v32
	v_add_f32_e32 v3, v3, v31
	ds_read_b128 v[31:34], v19 offset:144
	ds_read2_b64 v[35:38], v26 offset0:64 offset1:96
	s_waitcnt lgkmcnt(2)
	v_mul_f32_e32 v5, v27, v7
	v_add_f32_e32 v2, v2, v4
	v_mul_f32_e32 v4, v28, v7
	v_fmac_f32_e32 v5, v28, v6
	v_fma_f32 v4, v27, v6, -v4
	v_add_f32_e32 v2, v2, v5
	v_mul_f32_e32 v5, v29, v9
	v_add_f32_e32 v3, v3, v4
	v_mul_f32_e32 v4, v30, v9
	v_fmac_f32_e32 v5, v30, v8
	v_fma_f32 v4, v29, v8, -v4
	v_add_f32_e32 v2, v2, v5
	s_waitcnt lgkmcnt(0)
	v_mul_f32_e32 v5, v35, v32
	v_add_f32_e32 v3, v3, v4
	v_mul_f32_e32 v4, v36, v32
	v_fmac_f32_e32 v5, v36, v31
	v_fma_f32 v4, v35, v31, -v4
	v_add_f32_e32 v28, v2, v5
	v_mul_f32_e32 v2, v38, v34
	v_add_f32_e32 v27, v3, v4
	v_fma_f32 v29, v37, v33, -v2
	ds_read_b128 v[2:5], v19 offset:160
	ds_read2_b64 v[6:9], v26 offset0:128 offset1:160
	global_load_dwordx2 v[35:36], v[13:14], off
	v_mul_f32_e32 v30, v37, v34
	v_fmac_f32_e32 v30, v38, v33
	v_add_f32_e32 v31, v27, v29
	s_waitcnt lgkmcnt(0)
	v_mul_f32_e32 v33, v7, v3
	v_mul_f32_e32 v3, v6, v3
	v_add_f32_e32 v32, v28, v30
	v_fma_f32 v33, v6, v2, -v33
	v_fmac_f32_e32 v3, v7, v2
	ds_read_b128 v[27:30], v19 offset:176
	v_add_f32_e32 v2, v31, v33
	v_add_f32_e32 v3, v32, v3
	ds_read2_b64 v[31:34], v26 offset0:192 offset1:224
	v_mul_f32_e32 v6, v9, v5
	v_mul_f32_e32 v5, v8, v5
	v_fma_f32 v6, v8, v4, -v6
	v_fmac_f32_e32 v5, v9, v4
	s_waitcnt lgkmcnt(0)
	v_mul_f32_e32 v4, v32, v28
	v_add_f32_e32 v2, v2, v6
	v_add_f32_e32 v3, v3, v5
	v_fma_f32 v4, v31, v27, -v4
	v_mul_f32_e32 v5, v31, v28
	v_fmac_f32_e32 v5, v32, v27
	v_add_f32_e32 v26, v2, v4
	v_mul_f32_e32 v2, v34, v30
	v_add_u32_e32 v37, 0x1800, v21
	v_add_f32_e32 v27, v3, v5
	v_fma_f32 v28, v33, v29, -v2
	ds_read_b128 v[2:5], v19 offset:192
	ds_read2_b64 v[6:9], v37 offset1:32
	v_mul_f32_e32 v30, v33, v30
	v_fmac_f32_e32 v30, v34, v29
	v_add_f32_e32 v31, v26, v28
	v_add_f32_e32 v30, v27, v30
	ds_read_b128 v[26:29], v19 offset:208
	s_waitcnt lgkmcnt(1)
	v_mul_f32_e32 v32, v7, v3
	v_mul_f32_e32 v3, v6, v3
	v_fma_f32 v32, v6, v2, -v32
	v_fmac_f32_e32 v3, v7, v2
	v_add_f32_e32 v2, v31, v32
	v_add_f32_e32 v3, v30, v3
	ds_read2_b64 v[30:33], v37 offset0:64 offset1:96
	v_mul_f32_e32 v6, v9, v5
	v_mul_f32_e32 v5, v8, v5
	v_fma_f32 v6, v8, v4, -v6
	v_fmac_f32_e32 v5, v9, v4
	s_waitcnt lgkmcnt(0)
	v_mul_f32_e32 v4, v31, v27
	v_add_f32_e32 v2, v2, v6
	v_add_f32_e32 v3, v3, v5
	v_fma_f32 v4, v30, v26, -v4
	v_mul_f32_e32 v5, v30, v27
	v_fmac_f32_e32 v5, v31, v26
	v_add_f32_e32 v26, v2, v4
	v_mul_f32_e32 v2, v33, v29
	v_add_f32_e32 v27, v3, v5
	v_fma_f32 v30, v32, v28, -v2
	ds_read_b128 v[2:5], v19 offset:224
	ds_read2_b64 v[6:9], v37 offset0:128 offset1:160
	v_mul_f32_e32 v29, v32, v29
	v_fmac_f32_e32 v29, v33, v28
	v_add_f32_e32 v30, v26, v30
	v_add_f32_e32 v31, v27, v29
	s_waitcnt lgkmcnt(0)
	v_mul_f32_e32 v32, v7, v3
	v_mul_f32_e32 v3, v6, v3
	v_fma_f32 v32, v6, v2, -v32
	v_fmac_f32_e32 v3, v7, v2
	ds_read_b128 v[26:29], v19 offset:240
	v_add_f32_e32 v2, v30, v32
	v_add_f32_e32 v3, v31, v3
	ds_read2_b64 v[30:33], v37 offset0:192 offset1:224
	v_mul_f32_e32 v6, v9, v5
	v_mul_f32_e32 v5, v8, v5
	v_fmac_f32_e32 v5, v9, v4
	v_fma_f32 v6, v8, v4, -v6
	v_add_f32_e32 v3, v3, v5
	s_waitcnt lgkmcnt(0)
	v_mul_f32_e32 v4, v31, v27
	v_mul_f32_e32 v5, v30, v27
	v_add_f32_e32 v2, v2, v6
	v_fma_f32 v4, v30, v26, -v4
	v_fmac_f32_e32 v5, v31, v26
	v_add_f32_e32 v2, v2, v4
	v_add_f32_e32 v3, v3, v5
	v_mul_f32_e32 v4, v33, v29
	v_mul_f32_e32 v5, v32, v29
	v_fma_f32 v4, v32, v28, -v4
	v_fmac_f32_e32 v5, v33, v28
	v_add_f32_e32 v2, v2, v4
	v_add_f32_e32 v3, v3, v5
	v_mul_f32_e32 v4, s35, v3
	v_mul_f32_e32 v5, s35, v2
	v_fma_f32 v4, s34, v2, -v4
	v_fmac_f32_e32 v5, s34, v3
	s_waitcnt vmcnt(0)
	v_add_f32_e32 v2, v35, v4
	v_add_f32_e32 v3, v36, v5
	global_store_dwordx2 v[13:14], v[2:3], off
	s_branch .LBB24_6
.LBB24_21:
	s_endpgm
	.section	.rodata,"a",@progbits
	.p2align	6, 0x0
	.amdhsa_kernel _ZL24rocblas_symm_hemm_kernelILb1ELb0ELi32EPK19rocblas_complex_numIfES3_PS1_EvbiiT2_T3_lllS6_lllT4_llli
		.amdhsa_group_segment_fixed_size 16384
		.amdhsa_private_segment_fixed_size 0
		.amdhsa_kernarg_size 384
		.amdhsa_user_sgpr_count 6
		.amdhsa_user_sgpr_private_segment_buffer 1
		.amdhsa_user_sgpr_dispatch_ptr 0
		.amdhsa_user_sgpr_queue_ptr 0
		.amdhsa_user_sgpr_kernarg_segment_ptr 1
		.amdhsa_user_sgpr_dispatch_id 0
		.amdhsa_user_sgpr_flat_scratch_init 0
		.amdhsa_user_sgpr_private_segment_size 0
		.amdhsa_uses_dynamic_stack 0
		.amdhsa_system_sgpr_private_segment_wavefront_offset 0
		.amdhsa_system_sgpr_workgroup_id_x 1
		.amdhsa_system_sgpr_workgroup_id_y 1
		.amdhsa_system_sgpr_workgroup_id_z 1
		.amdhsa_system_sgpr_workgroup_info 0
		.amdhsa_system_vgpr_workitem_id 1
		.amdhsa_next_free_vgpr 39
		.amdhsa_next_free_sgpr 61
		.amdhsa_reserve_vcc 1
		.amdhsa_reserve_flat_scratch 0
		.amdhsa_float_round_mode_32 0
		.amdhsa_float_round_mode_16_64 0
		.amdhsa_float_denorm_mode_32 3
		.amdhsa_float_denorm_mode_16_64 3
		.amdhsa_dx10_clamp 1
		.amdhsa_ieee_mode 1
		.amdhsa_fp16_overflow 0
		.amdhsa_exception_fp_ieee_invalid_op 0
		.amdhsa_exception_fp_denorm_src 0
		.amdhsa_exception_fp_ieee_div_zero 0
		.amdhsa_exception_fp_ieee_overflow 0
		.amdhsa_exception_fp_ieee_underflow 0
		.amdhsa_exception_fp_ieee_inexact 0
		.amdhsa_exception_int_div_zero 0
	.end_amdhsa_kernel
	.section	.text._ZL24rocblas_symm_hemm_kernelILb1ELb0ELi32EPK19rocblas_complex_numIfES3_PS1_EvbiiT2_T3_lllS6_lllT4_llli,"axG",@progbits,_ZL24rocblas_symm_hemm_kernelILb1ELb0ELi32EPK19rocblas_complex_numIfES3_PS1_EvbiiT2_T3_lllS6_lllT4_llli,comdat
.Lfunc_end24:
	.size	_ZL24rocblas_symm_hemm_kernelILb1ELb0ELi32EPK19rocblas_complex_numIfES3_PS1_EvbiiT2_T3_lllS6_lllT4_llli, .Lfunc_end24-_ZL24rocblas_symm_hemm_kernelILb1ELb0ELi32EPK19rocblas_complex_numIfES3_PS1_EvbiiT2_T3_lllS6_lllT4_llli
                                        ; -- End function
	.set _ZL24rocblas_symm_hemm_kernelILb1ELb0ELi32EPK19rocblas_complex_numIfES3_PS1_EvbiiT2_T3_lllS6_lllT4_llli.num_vgpr, 39
	.set _ZL24rocblas_symm_hemm_kernelILb1ELb0ELi32EPK19rocblas_complex_numIfES3_PS1_EvbiiT2_T3_lllS6_lllT4_llli.num_agpr, 0
	.set _ZL24rocblas_symm_hemm_kernelILb1ELb0ELi32EPK19rocblas_complex_numIfES3_PS1_EvbiiT2_T3_lllS6_lllT4_llli.numbered_sgpr, 44
	.set _ZL24rocblas_symm_hemm_kernelILb1ELb0ELi32EPK19rocblas_complex_numIfES3_PS1_EvbiiT2_T3_lllS6_lllT4_llli.num_named_barrier, 0
	.set _ZL24rocblas_symm_hemm_kernelILb1ELb0ELi32EPK19rocblas_complex_numIfES3_PS1_EvbiiT2_T3_lllS6_lllT4_llli.private_seg_size, 0
	.set _ZL24rocblas_symm_hemm_kernelILb1ELb0ELi32EPK19rocblas_complex_numIfES3_PS1_EvbiiT2_T3_lllS6_lllT4_llli.uses_vcc, 1
	.set _ZL24rocblas_symm_hemm_kernelILb1ELb0ELi32EPK19rocblas_complex_numIfES3_PS1_EvbiiT2_T3_lllS6_lllT4_llli.uses_flat_scratch, 0
	.set _ZL24rocblas_symm_hemm_kernelILb1ELb0ELi32EPK19rocblas_complex_numIfES3_PS1_EvbiiT2_T3_lllS6_lllT4_llli.has_dyn_sized_stack, 0
	.set _ZL24rocblas_symm_hemm_kernelILb1ELb0ELi32EPK19rocblas_complex_numIfES3_PS1_EvbiiT2_T3_lllS6_lllT4_llli.has_recursion, 0
	.set _ZL24rocblas_symm_hemm_kernelILb1ELb0ELi32EPK19rocblas_complex_numIfES3_PS1_EvbiiT2_T3_lllS6_lllT4_llli.has_indirect_call, 0
	.section	.AMDGPU.csdata,"",@progbits
; Kernel info:
; codeLenInByte = 2284
; TotalNumSgprs: 48
; NumVgprs: 39
; ScratchSize: 0
; MemoryBound: 0
; FloatMode: 240
; IeeeMode: 1
; LDSByteSize: 16384 bytes/workgroup (compile time only)
; SGPRBlocks: 8
; VGPRBlocks: 9
; NumSGPRsForWavesPerEU: 65
; NumVGPRsForWavesPerEU: 39
; Occupancy: 6
; WaveLimiterHint : 0
; COMPUTE_PGM_RSRC2:SCRATCH_EN: 0
; COMPUTE_PGM_RSRC2:USER_SGPR: 6
; COMPUTE_PGM_RSRC2:TRAP_HANDLER: 0
; COMPUTE_PGM_RSRC2:TGID_X_EN: 1
; COMPUTE_PGM_RSRC2:TGID_Y_EN: 1
; COMPUTE_PGM_RSRC2:TGID_Z_EN: 1
; COMPUTE_PGM_RSRC2:TIDIG_COMP_CNT: 1
	.section	.text._ZL24rocblas_symm_hemm_kernelILb1ELb1ELi32EPK19rocblas_complex_numIfES3_PS1_EvbiiT2_T3_lllS6_lllT4_llli,"axG",@progbits,_ZL24rocblas_symm_hemm_kernelILb1ELb1ELi32EPK19rocblas_complex_numIfES3_PS1_EvbiiT2_T3_lllS6_lllT4_llli,comdat
	.globl	_ZL24rocblas_symm_hemm_kernelILb1ELb1ELi32EPK19rocblas_complex_numIfES3_PS1_EvbiiT2_T3_lllS6_lllT4_llli ; -- Begin function _ZL24rocblas_symm_hemm_kernelILb1ELb1ELi32EPK19rocblas_complex_numIfES3_PS1_EvbiiT2_T3_lllS6_lllT4_llli
	.p2align	8
	.type	_ZL24rocblas_symm_hemm_kernelILb1ELb1ELi32EPK19rocblas_complex_numIfES3_PS1_EvbiiT2_T3_lllS6_lllT4_llli,@function
_ZL24rocblas_symm_hemm_kernelILb1ELb1ELi32EPK19rocblas_complex_numIfES3_PS1_EvbiiT2_T3_lllS6_lllT4_llli: ; @_ZL24rocblas_symm_hemm_kernelILb1ELb1ELi32EPK19rocblas_complex_numIfES3_PS1_EvbiiT2_T3_lllS6_lllT4_llli
; %bb.0:
	s_load_dwordx16 s[12:27], s[4:5], 0x10
	s_waitcnt lgkmcnt(0)
	s_load_dwordx2 s[10:11], s[12:13], 0x0
	s_waitcnt lgkmcnt(0)
	v_cmp_eq_f32_e64 s[0:1], s10, 0
	v_cmp_eq_f32_e64 s[2:3], s11, 0
	s_and_b64 s[0:1], s[0:1], s[2:3]
	s_and_b64 vcc, exec, s[0:1]
	s_cbranch_vccnz .LBB25_21
; %bb.1:
	s_load_dwordx4 s[28:31], s[4:5], 0x0
	s_waitcnt lgkmcnt(0)
	s_add_i32 s0, s30, -1
	s_ashr_i32 s1, s0, 31
	s_lshr_b32 s1, s1, 27
	s_add_i32 s0, s0, s1
	s_ashr_i32 s31, s0, 5
	s_cmp_gt_i32 s7, s31
	s_cbranch_scc1 .LBB25_21
; %bb.2:
	s_mul_i32 s0, s21, s8
	s_mul_hi_u32 s1, s20, s8
	s_add_i32 s1, s1, s0
	s_mul_i32 s0, s20, s8
	s_lshl_b64 s[0:1], s[0:1], 3
	s_add_u32 s2, s14, s0
	s_addc_u32 s3, s15, s1
	s_lshl_b64 s[0:1], s[16:17], 3
	s_add_u32 s20, s2, s0
	s_addc_u32 s21, s3, s1
	s_load_dwordx2 s[2:3], s[4:5], 0x70
	s_bitcmp1_b32 s28, 0
	s_load_dwordx8 s[36:43], s[4:5], 0x50
	s_load_dword s28, s[4:5], 0x84
	s_cselect_b64 s[0:1], -1, 0
	v_lshl_add_u32 v2, s6, 5, v0
	s_waitcnt lgkmcnt(0)
	s_mul_i32 s3, s3, s8
	s_mul_hi_u32 s4, s2, s8
	s_add_i32 s3, s4, s3
	s_mul_i32 s2, s2, s8
	s_lshl_b64 s[2:3], s[2:3], 3
	s_add_u32 s4, s38, s2
	s_addc_u32 s5, s39, s3
	s_lshl_b64 s[2:3], s[40:41], 3
	s_add_u32 s9, s4, s2
	s_addc_u32 s12, s5, s3
	s_mul_i32 s2, s37, s8
	s_mul_hi_u32 s3, s36, s8
	s_add_i32 s3, s3, s2
	s_mul_i32 s2, s36, s8
	s_lshl_b64 s[2:3], s[2:3], 3
	s_add_u32 s4, s22, s2
	s_addc_u32 s5, s23, s3
	s_lshl_b64 s[2:3], s[24:25], 3
	s_add_u32 s8, s4, s2
	v_ashrrev_i32_e32 v3, 31, v2
	s_addc_u32 s13, s5, s3
	v_cmp_gt_i32_e64 s[2:3], s29, v2
	v_lshlrev_b64 v[2:3], 3, v[2:3]
	v_mov_b32_e32 v4, s13
	v_add_co_u32_e32 v15, vcc, s8, v2
	s_cmp_gt_i32 s30, 0
	v_addc_co_u32_e32 v16, vcc, v4, v3, vcc
	s_cselect_b64 s[4:5], -1, 0
	v_lshlrev_b32_e32 v17, 8, v0
	v_lshlrev_b32_e32 v4, 3, v1
	v_add_co_u32_e32 v21, vcc, s9, v2
	v_lshl_add_u32 v2, s7, 5, v1
	v_add_u32_e32 v18, v17, v4
	v_or_b32_e32 v19, 0x2000, v4
	v_mov_b32_e32 v4, s12
	v_sub_u32_e32 v23, 0, v2
	v_cndmask_b32_e64 v2, 0, 1, s[4:5]
	v_add_u32_e32 v20, v19, v17
	v_addc_co_u32_e32 v22, vcc, v4, v3, vcc
	s_lshl_b32 s6, s28, 5
	v_cmp_ne_u32_e64 s[4:5], 1, v2
	s_branch .LBB25_4
.LBB25_3:                               ;   in Loop: Header=BB25_4 Depth=1
	s_add_i32 s7, s7, s28
	s_cmp_gt_i32 s7, s31
	v_subrev_u32_e32 v23, s6, v23
	s_cbranch_scc1 .LBB25_21
.LBB25_4:                               ; =>This Loop Header: Depth=1
                                        ;     Child Loop BB25_7 Depth 2
	s_and_b64 vcc, exec, s[4:5]
	s_cbranch_vccnz .LBB25_3
; %bb.5:                                ;   in Loop: Header=BB25_4 Depth=1
	v_lshl_add_u32 v10, s7, 5, v1
	v_ashrrev_i32_e32 v11, 31, v10
	v_mul_lo_u32 v4, s19, v10
	v_mad_u64_u32 v[2:3], s[8:9], s18, v10, 0
	v_mul_lo_u32 v5, s18, v11
	v_mul_lo_u32 v7, s42, v11
	;; [unrolled: 1-line block ×3, first 2 shown]
	v_mov_b32_e32 v6, s21
	v_add3_u32 v3, v3, v5, v4
	v_lshlrev_b64 v[2:3], 3, v[2:3]
	v_mov_b32_e32 v4, s21
	v_add_co_u32_e32 v24, vcc, s20, v2
	v_addc_co_u32_e32 v25, vcc, v4, v3, vcc
	v_mad_u64_u32 v[4:5], s[8:9], s42, v10, 0
	v_lshlrev_b64 v[2:3], 3, v[10:11]
	v_add_u32_e32 v28, v0, v23
	v_add_co_u32_e32 v26, vcc, s20, v2
	v_add3_u32 v5, v5, v7, v8
	v_addc_co_u32_e32 v27, vcc, v6, v3, vcc
	v_lshlrev_b64 v[4:5], 3, v[4:5]
	v_cmp_gt_i32_e32 vcc, s30, v10
	s_and_b64 s[12:13], s[2:3], vcc
	v_add_co_u32_e32 v11, vcc, v21, v4
	v_addc_co_u32_e32 v12, vcc, v22, v5, vcc
	v_add_co_u32_e32 v13, vcc, v24, v2
	v_addc_co_u32_e32 v14, vcc, v25, v3, vcc
	s_mov_b32 s22, 0
	s_branch .LBB25_7
.LBB25_6:                               ;   in Loop: Header=BB25_7 Depth=2
	s_or_b64 exec, exec, s[8:9]
	s_add_i32 s22, s22, 32
	s_cmp_ge_i32 s22, s30
	s_waitcnt vmcnt(0)
	s_barrier
	s_cbranch_scc1 .LBB25_3
.LBB25_7:                               ;   Parent Loop BB25_4 Depth=1
                                        ; =>  This Inner Loop Header: Depth=2
	v_add_u32_e32 v5, s22, v1
	v_cmp_gt_i32_e32 vcc, s30, v5
	s_and_b64 s[14:15], s[2:3], vcc
	v_mov_b32_e32 v2, 0
	v_mov_b32_e32 v3, 0
	;; [unrolled: 1-line block ×3, first 2 shown]
	s_and_saveexec_b64 s[8:9], s[14:15]
	s_cbranch_execz .LBB25_9
; %bb.8:                                ;   in Loop: Header=BB25_7 Depth=2
	v_ashrrev_i32_e32 v6, 31, v5
	v_mul_lo_u32 v7, s27, v5
	v_mad_u64_u32 v[3:4], s[14:15], s26, v5, 0
	v_mul_lo_u32 v5, s26, v6
	v_add3_u32 v4, v4, v5, v7
	v_lshlrev_b64 v[3:4], 3, v[3:4]
	v_add_co_u32_e32 v3, vcc, v15, v3
	v_addc_co_u32_e32 v4, vcc, v16, v4, vcc
	global_load_dwordx2 v[3:4], v[3:4], off
.LBB25_9:                               ;   in Loop: Header=BB25_7 Depth=2
	s_or_b64 exec, exec, s[8:9]
	s_waitcnt vmcnt(0)
	ds_write_b64 v18, v[3:4]
	v_add_u32_e32 v4, s22, v0
	v_cndmask_b32_e64 v3, v10, v4, s[0:1]
	v_cndmask_b32_e64 v5, v4, v10, s[0:1]
	v_cmp_gt_i32_e64 s[8:9], v3, v5
	v_cmp_le_i32_e32 vcc, v3, v5
	v_cndmask_b32_e64 v3, v4, v10, s[8:9]
	v_cndmask_b32_e64 v5, v10, v4, s[8:9]
	v_max_i32_e32 v3, v3, v5
	v_cmp_gt_i32_e64 s[8:9], s30, v3
	v_mov_b32_e32 v3, 0
	s_and_saveexec_b64 s[14:15], s[8:9]
	s_cbranch_execz .LBB25_19
; %bb.10:                               ;   in Loop: Header=BB25_7 Depth=2
                                        ; implicit-def: $vgpr3
	s_and_saveexec_b64 s[8:9], vcc
	s_xor_b64 s[8:9], exec, s[8:9]
	s_cbranch_execz .LBB25_16
; %bb.11:                               ;   in Loop: Header=BB25_7 Depth=2
	v_add_u32_e32 v2, s22, v28
	v_cmp_ne_u32_e32 vcc, 0, v2
                                        ; implicit-def: $vgpr3
	s_and_saveexec_b64 s[16:17], vcc
	s_xor_b64 s[16:17], exec, s[16:17]
	s_cbranch_execz .LBB25_13
; %bb.12:                               ;   in Loop: Header=BB25_7 Depth=2
	v_ashrrev_i32_e32 v5, 31, v4
	v_lshlrev_b64 v[2:3], 3, v[4:5]
	v_add_co_u32_e32 v2, vcc, v24, v2
	v_addc_co_u32_e32 v3, vcc, v25, v3, vcc
	global_load_dwordx2 v[2:3], v[2:3], off
.LBB25_13:                              ;   in Loop: Header=BB25_7 Depth=2
	s_andn2_saveexec_b64 s[16:17], s[16:17]
	s_cbranch_execz .LBB25_15
; %bb.14:                               ;   in Loop: Header=BB25_7 Depth=2
	global_load_dword v2, v[13:14], off
	s_waitcnt vmcnt(1)
	v_mov_b32_e32 v3, 0
.LBB25_15:                              ;   in Loop: Header=BB25_7 Depth=2
	s_or_b64 exec, exec, s[16:17]
                                        ; implicit-def: $vgpr4
.LBB25_16:                              ;   in Loop: Header=BB25_7 Depth=2
	s_andn2_saveexec_b64 s[8:9], s[8:9]
	s_cbranch_execz .LBB25_18
; %bb.17:                               ;   in Loop: Header=BB25_7 Depth=2
	v_ashrrev_i32_e32 v5, 31, v4
	v_mul_lo_u32 v6, s19, v4
	s_waitcnt vmcnt(0)
	v_mad_u64_u32 v[2:3], s[16:17], s18, v4, 0
	v_mul_lo_u32 v4, s18, v5
	v_add3_u32 v3, v3, v4, v6
	v_lshlrev_b64 v[2:3], 3, v[2:3]
	v_add_co_u32_e32 v2, vcc, v26, v2
	v_addc_co_u32_e32 v3, vcc, v27, v3, vcc
	global_load_dwordx2 v[2:3], v[2:3], off
	s_waitcnt vmcnt(0)
	v_xor_b32_e32 v3, 0x80000000, v3
.LBB25_18:                              ;   in Loop: Header=BB25_7 Depth=2
	s_or_b64 exec, exec, s[8:9]
.LBB25_19:                              ;   in Loop: Header=BB25_7 Depth=2
	s_or_b64 exec, exec, s[14:15]
	s_waitcnt vmcnt(0)
	ds_write_b64 v20, v[2:3]
	s_waitcnt lgkmcnt(0)
	s_barrier
	s_and_saveexec_b64 s[8:9], s[12:13]
	s_cbranch_execz .LBB25_6
; %bb.20:                               ;   in Loop: Header=BB25_7 Depth=2
	ds_read2_b64 v[2:5], v19 offset1:32
	ds_read_b128 v[6:9], v17
	ds_read_b128 v[29:32], v17 offset:16
	ds_read_b128 v[33:36], v17 offset:32
	;; [unrolled: 1-line block ×3, first 2 shown]
	s_waitcnt lgkmcnt(3)
	v_mul_f32_e32 v41, v3, v7
	v_fma_f32 v41, v2, v6, -v41
	v_mul_f32_e32 v7, v2, v7
	v_mul_f32_e32 v2, v5, v9
	;; [unrolled: 1-line block ×3, first 2 shown]
	v_fmac_f32_e32 v7, v3, v6
	v_fma_f32 v6, v4, v8, -v2
	v_fmac_f32_e32 v9, v5, v8
	ds_read2_b64 v[2:5], v19 offset0:64 offset1:96
	v_add_f32_e32 v8, 0, v41
	v_add_f32_e32 v6, v8, v6
	;; [unrolled: 1-line block ×4, first 2 shown]
	s_waitcnt lgkmcnt(0)
	v_mul_f32_e32 v8, v3, v30
	v_fma_f32 v8, v2, v29, -v8
	v_mul_f32_e32 v2, v2, v30
	v_fmac_f32_e32 v2, v3, v29
	v_add_f32_e32 v3, v6, v8
	v_mul_f32_e32 v6, v5, v32
	v_add_f32_e32 v2, v7, v2
	v_fma_f32 v29, v4, v31, -v6
	ds_read2_b64 v[6:9], v19 offset0:128 offset1:160
	v_mul_f32_e32 v4, v4, v32
	v_fmac_f32_e32 v4, v5, v31
	v_add_f32_e32 v2, v2, v4
	v_add_f32_e32 v3, v3, v29
	s_waitcnt lgkmcnt(0)
	v_mul_f32_e32 v5, v6, v34
	v_mul_f32_e32 v4, v7, v34
	v_fmac_f32_e32 v5, v7, v33
	v_fma_f32 v4, v6, v33, -v4
	v_add_f32_e32 v7, v2, v5
	v_mul_f32_e32 v2, v9, v36
	v_add_f32_e32 v6, v3, v4
	v_fma_f32 v29, v8, v35, -v2
	ds_read2_b64 v[2:5], v19 offset0:192 offset1:224
	v_mul_f32_e32 v8, v8, v36
	v_fmac_f32_e32 v8, v9, v35
	v_add_f32_e32 v7, v7, v8
	v_add_f32_e32 v6, v6, v29
	s_waitcnt lgkmcnt(0)
	v_mul_f32_e32 v8, v3, v38
	v_fma_f32 v8, v2, v37, -v8
	v_mul_f32_e32 v2, v2, v38
	v_fmac_f32_e32 v2, v3, v37
	v_add_f32_e32 v3, v6, v8
	v_mul_f32_e32 v6, v5, v40
	v_add_u32_e32 v37, 0x800, v19
	v_add_f32_e32 v2, v7, v2
	v_fma_f32 v33, v4, v39, -v6
	ds_read_b128 v[6:9], v17 offset:64
	ds_read2_b64 v[29:32], v37 offset1:32
	v_mul_f32_e32 v4, v4, v40
	v_fmac_f32_e32 v4, v5, v39
	v_add_f32_e32 v33, v3, v33
	v_add_f32_e32 v34, v2, v4
	ds_read_b128 v[2:5], v17 offset:80
	s_waitcnt lgkmcnt(1)
	v_mul_f32_e32 v35, v30, v7
	v_mul_f32_e32 v7, v29, v7
	v_fma_f32 v35, v29, v6, -v35
	v_fmac_f32_e32 v7, v30, v6
	v_add_f32_e32 v6, v33, v35
	v_add_f32_e32 v7, v34, v7
	ds_read2_b64 v[33:36], v37 offset0:64 offset1:96
	v_mul_f32_e32 v29, v32, v9
	v_mul_f32_e32 v9, v31, v9
	v_fma_f32 v29, v31, v8, -v29
	v_fmac_f32_e32 v9, v32, v8
	s_waitcnt lgkmcnt(0)
	v_mul_f32_e32 v8, v34, v3
	v_add_f32_e32 v6, v6, v29
	v_fma_f32 v8, v33, v2, -v8
	v_mul_f32_e32 v3, v33, v3
	v_add_f32_e32 v7, v7, v9
	v_fmac_f32_e32 v3, v34, v2
	v_add_f32_e32 v2, v6, v8
	v_mul_f32_e32 v6, v36, v5
	v_add_f32_e32 v3, v7, v3
	v_fma_f32 v9, v35, v4, -v6
	v_mul_f32_e32 v33, v35, v5
	ds_read_b128 v[5:8], v17 offset:96
	ds_read2_b64 v[29:32], v37 offset0:128 offset1:160
	v_fmac_f32_e32 v33, v36, v4
	v_add_f32_e32 v2, v2, v9
	v_add_f32_e32 v3, v3, v33
	ds_read_b128 v[33:36], v17 offset:112
	s_waitcnt lgkmcnt(1)
	v_mul_f32_e32 v4, v30, v6
	v_fma_f32 v4, v29, v5, -v4
	v_mul_f32_e32 v6, v29, v6
	v_fmac_f32_e32 v6, v30, v5
	v_add_f32_e32 v9, v2, v4
	v_mul_f32_e32 v2, v32, v8
	v_add_f32_e32 v6, v3, v6
	v_fma_f32 v29, v31, v7, -v2
	ds_read2_b64 v[2:5], v37 offset0:192 offset1:224
	v_mul_f32_e32 v8, v31, v8
	v_fmac_f32_e32 v8, v32, v7
	v_add_f32_e32 v6, v6, v8
	v_add_f32_e32 v7, v9, v29
	s_waitcnt lgkmcnt(0)
	v_mul_f32_e32 v8, v3, v34
	v_fma_f32 v8, v2, v33, -v8
	v_mul_f32_e32 v2, v2, v34
	v_fmac_f32_e32 v2, v3, v33
	v_add_f32_e32 v2, v6, v2
	v_mul_f32_e32 v6, v5, v36
	v_add_u32_e32 v29, 0x1000, v19
	v_add_f32_e32 v3, v7, v8
	v_fma_f32 v34, v4, v35, -v6
	ds_read_b128 v[6:9], v17 offset:128
	ds_read2_b64 v[30:33], v29 offset1:32
	v_mul_f32_e32 v4, v4, v36
	v_fmac_f32_e32 v4, v5, v35
	v_add_f32_e32 v3, v3, v34
	ds_read_b128 v[34:37], v17 offset:144
	ds_read2_b64 v[38:41], v29 offset0:64 offset1:96
	s_waitcnt lgkmcnt(2)
	v_mul_f32_e32 v5, v30, v7
	v_add_f32_e32 v2, v2, v4
	v_mul_f32_e32 v4, v31, v7
	v_fmac_f32_e32 v5, v31, v6
	v_fma_f32 v4, v30, v6, -v4
	v_add_f32_e32 v2, v2, v5
	v_mul_f32_e32 v5, v32, v9
	v_add_f32_e32 v3, v3, v4
	v_mul_f32_e32 v4, v33, v9
	v_fmac_f32_e32 v5, v33, v8
	v_fma_f32 v4, v32, v8, -v4
	v_add_f32_e32 v2, v2, v5
	s_waitcnt lgkmcnt(0)
	v_mul_f32_e32 v5, v38, v35
	v_add_f32_e32 v3, v3, v4
	v_mul_f32_e32 v4, v39, v35
	v_fmac_f32_e32 v5, v39, v34
	v_fma_f32 v4, v38, v34, -v4
	v_add_f32_e32 v31, v2, v5
	v_mul_f32_e32 v2, v41, v37
	v_add_f32_e32 v30, v3, v4
	v_fma_f32 v32, v40, v36, -v2
	ds_read_b128 v[2:5], v17 offset:160
	ds_read2_b64 v[6:9], v29 offset0:128 offset1:160
	global_load_dwordx2 v[38:39], v[11:12], off
	v_mul_f32_e32 v33, v40, v37
	v_fmac_f32_e32 v33, v41, v36
	v_add_f32_e32 v34, v30, v32
	s_waitcnt lgkmcnt(0)
	v_mul_f32_e32 v36, v7, v3
	v_mul_f32_e32 v3, v6, v3
	v_add_f32_e32 v35, v31, v33
	v_fma_f32 v36, v6, v2, -v36
	v_fmac_f32_e32 v3, v7, v2
	ds_read_b128 v[30:33], v17 offset:176
	v_add_f32_e32 v2, v34, v36
	v_add_f32_e32 v3, v35, v3
	ds_read2_b64 v[34:37], v29 offset0:192 offset1:224
	v_mul_f32_e32 v6, v9, v5
	v_mul_f32_e32 v5, v8, v5
	v_fma_f32 v6, v8, v4, -v6
	v_fmac_f32_e32 v5, v9, v4
	s_waitcnt lgkmcnt(0)
	v_mul_f32_e32 v4, v35, v31
	v_add_f32_e32 v2, v2, v6
	v_add_f32_e32 v3, v3, v5
	v_fma_f32 v4, v34, v30, -v4
	v_mul_f32_e32 v5, v34, v31
	v_fmac_f32_e32 v5, v35, v30
	v_add_f32_e32 v29, v2, v4
	v_mul_f32_e32 v2, v37, v33
	v_add_u32_e32 v40, 0x1800, v19
	v_add_f32_e32 v30, v3, v5
	v_fma_f32 v31, v36, v32, -v2
	ds_read_b128 v[2:5], v17 offset:192
	ds_read2_b64 v[6:9], v40 offset1:32
	v_mul_f32_e32 v33, v36, v33
	v_fmac_f32_e32 v33, v37, v32
	v_add_f32_e32 v34, v29, v31
	v_add_f32_e32 v33, v30, v33
	ds_read_b128 v[29:32], v17 offset:208
	s_waitcnt lgkmcnt(1)
	v_mul_f32_e32 v35, v7, v3
	v_mul_f32_e32 v3, v6, v3
	v_fma_f32 v35, v6, v2, -v35
	v_fmac_f32_e32 v3, v7, v2
	v_add_f32_e32 v2, v34, v35
	v_add_f32_e32 v3, v33, v3
	ds_read2_b64 v[33:36], v40 offset0:64 offset1:96
	v_mul_f32_e32 v6, v9, v5
	v_mul_f32_e32 v5, v8, v5
	v_fma_f32 v6, v8, v4, -v6
	v_fmac_f32_e32 v5, v9, v4
	s_waitcnt lgkmcnt(0)
	v_mul_f32_e32 v4, v34, v30
	v_add_f32_e32 v2, v2, v6
	v_add_f32_e32 v3, v3, v5
	v_fma_f32 v4, v33, v29, -v4
	v_mul_f32_e32 v5, v33, v30
	v_fmac_f32_e32 v5, v34, v29
	v_add_f32_e32 v29, v2, v4
	v_mul_f32_e32 v2, v36, v32
	v_add_f32_e32 v30, v3, v5
	v_fma_f32 v33, v35, v31, -v2
	ds_read_b128 v[2:5], v17 offset:224
	ds_read2_b64 v[6:9], v40 offset0:128 offset1:160
	v_mul_f32_e32 v32, v35, v32
	v_fmac_f32_e32 v32, v36, v31
	v_add_f32_e32 v33, v29, v33
	v_add_f32_e32 v34, v30, v32
	s_waitcnt lgkmcnt(0)
	v_mul_f32_e32 v35, v7, v3
	v_mul_f32_e32 v3, v6, v3
	v_fma_f32 v35, v6, v2, -v35
	v_fmac_f32_e32 v3, v7, v2
	ds_read_b128 v[29:32], v17 offset:240
	v_add_f32_e32 v2, v33, v35
	v_add_f32_e32 v3, v34, v3
	ds_read2_b64 v[33:36], v40 offset0:192 offset1:224
	v_mul_f32_e32 v6, v9, v5
	v_mul_f32_e32 v5, v8, v5
	v_fmac_f32_e32 v5, v9, v4
	v_fma_f32 v6, v8, v4, -v6
	v_add_f32_e32 v3, v3, v5
	s_waitcnt lgkmcnt(0)
	v_mul_f32_e32 v4, v34, v30
	v_mul_f32_e32 v5, v33, v30
	v_add_f32_e32 v2, v2, v6
	v_fma_f32 v4, v33, v29, -v4
	v_fmac_f32_e32 v5, v34, v29
	v_add_f32_e32 v2, v2, v4
	v_add_f32_e32 v3, v3, v5
	v_mul_f32_e32 v4, v36, v32
	v_mul_f32_e32 v5, v35, v32
	v_fma_f32 v4, v35, v31, -v4
	v_fmac_f32_e32 v5, v36, v31
	v_add_f32_e32 v2, v2, v4
	v_add_f32_e32 v3, v3, v5
	v_mul_f32_e32 v4, s11, v3
	v_mul_f32_e32 v5, s11, v2
	v_fma_f32 v4, s10, v2, -v4
	v_fmac_f32_e32 v5, s10, v3
	s_waitcnt vmcnt(0)
	v_add_f32_e32 v2, v38, v4
	v_add_f32_e32 v3, v39, v5
	global_store_dwordx2 v[11:12], v[2:3], off
	s_branch .LBB25_6
.LBB25_21:
	s_endpgm
	.section	.rodata,"a",@progbits
	.p2align	6, 0x0
	.amdhsa_kernel _ZL24rocblas_symm_hemm_kernelILb1ELb1ELi32EPK19rocblas_complex_numIfES3_PS1_EvbiiT2_T3_lllS6_lllT4_llli
		.amdhsa_group_segment_fixed_size 16384
		.amdhsa_private_segment_fixed_size 0
		.amdhsa_kernarg_size 384
		.amdhsa_user_sgpr_count 6
		.amdhsa_user_sgpr_private_segment_buffer 1
		.amdhsa_user_sgpr_dispatch_ptr 0
		.amdhsa_user_sgpr_queue_ptr 0
		.amdhsa_user_sgpr_kernarg_segment_ptr 1
		.amdhsa_user_sgpr_dispatch_id 0
		.amdhsa_user_sgpr_flat_scratch_init 0
		.amdhsa_user_sgpr_private_segment_size 0
		.amdhsa_uses_dynamic_stack 0
		.amdhsa_system_sgpr_private_segment_wavefront_offset 0
		.amdhsa_system_sgpr_workgroup_id_x 1
		.amdhsa_system_sgpr_workgroup_id_y 1
		.amdhsa_system_sgpr_workgroup_id_z 1
		.amdhsa_system_sgpr_workgroup_info 0
		.amdhsa_system_vgpr_workitem_id 1
		.amdhsa_next_free_vgpr 42
		.amdhsa_next_free_sgpr 61
		.amdhsa_reserve_vcc 1
		.amdhsa_reserve_flat_scratch 0
		.amdhsa_float_round_mode_32 0
		.amdhsa_float_round_mode_16_64 0
		.amdhsa_float_denorm_mode_32 3
		.amdhsa_float_denorm_mode_16_64 3
		.amdhsa_dx10_clamp 1
		.amdhsa_ieee_mode 1
		.amdhsa_fp16_overflow 0
		.amdhsa_exception_fp_ieee_invalid_op 0
		.amdhsa_exception_fp_denorm_src 0
		.amdhsa_exception_fp_ieee_div_zero 0
		.amdhsa_exception_fp_ieee_overflow 0
		.amdhsa_exception_fp_ieee_underflow 0
		.amdhsa_exception_fp_ieee_inexact 0
		.amdhsa_exception_int_div_zero 0
	.end_amdhsa_kernel
	.section	.text._ZL24rocblas_symm_hemm_kernelILb1ELb1ELi32EPK19rocblas_complex_numIfES3_PS1_EvbiiT2_T3_lllS6_lllT4_llli,"axG",@progbits,_ZL24rocblas_symm_hemm_kernelILb1ELb1ELi32EPK19rocblas_complex_numIfES3_PS1_EvbiiT2_T3_lllS6_lllT4_llli,comdat
.Lfunc_end25:
	.size	_ZL24rocblas_symm_hemm_kernelILb1ELb1ELi32EPK19rocblas_complex_numIfES3_PS1_EvbiiT2_T3_lllS6_lllT4_llli, .Lfunc_end25-_ZL24rocblas_symm_hemm_kernelILb1ELb1ELi32EPK19rocblas_complex_numIfES3_PS1_EvbiiT2_T3_lllS6_lllT4_llli
                                        ; -- End function
	.set _ZL24rocblas_symm_hemm_kernelILb1ELb1ELi32EPK19rocblas_complex_numIfES3_PS1_EvbiiT2_T3_lllS6_lllT4_llli.num_vgpr, 42
	.set _ZL24rocblas_symm_hemm_kernelILb1ELb1ELi32EPK19rocblas_complex_numIfES3_PS1_EvbiiT2_T3_lllS6_lllT4_llli.num_agpr, 0
	.set _ZL24rocblas_symm_hemm_kernelILb1ELb1ELi32EPK19rocblas_complex_numIfES3_PS1_EvbiiT2_T3_lllS6_lllT4_llli.numbered_sgpr, 44
	.set _ZL24rocblas_symm_hemm_kernelILb1ELb1ELi32EPK19rocblas_complex_numIfES3_PS1_EvbiiT2_T3_lllS6_lllT4_llli.num_named_barrier, 0
	.set _ZL24rocblas_symm_hemm_kernelILb1ELb1ELi32EPK19rocblas_complex_numIfES3_PS1_EvbiiT2_T3_lllS6_lllT4_llli.private_seg_size, 0
	.set _ZL24rocblas_symm_hemm_kernelILb1ELb1ELi32EPK19rocblas_complex_numIfES3_PS1_EvbiiT2_T3_lllS6_lllT4_llli.uses_vcc, 1
	.set _ZL24rocblas_symm_hemm_kernelILb1ELb1ELi32EPK19rocblas_complex_numIfES3_PS1_EvbiiT2_T3_lllS6_lllT4_llli.uses_flat_scratch, 0
	.set _ZL24rocblas_symm_hemm_kernelILb1ELb1ELi32EPK19rocblas_complex_numIfES3_PS1_EvbiiT2_T3_lllS6_lllT4_llli.has_dyn_sized_stack, 0
	.set _ZL24rocblas_symm_hemm_kernelILb1ELb1ELi32EPK19rocblas_complex_numIfES3_PS1_EvbiiT2_T3_lllS6_lllT4_llli.has_recursion, 0
	.set _ZL24rocblas_symm_hemm_kernelILb1ELb1ELi32EPK19rocblas_complex_numIfES3_PS1_EvbiiT2_T3_lllS6_lllT4_llli.has_indirect_call, 0
	.section	.AMDGPU.csdata,"",@progbits
; Kernel info:
; codeLenInByte = 2260
; TotalNumSgprs: 48
; NumVgprs: 42
; ScratchSize: 0
; MemoryBound: 0
; FloatMode: 240
; IeeeMode: 1
; LDSByteSize: 16384 bytes/workgroup (compile time only)
; SGPRBlocks: 8
; VGPRBlocks: 10
; NumSGPRsForWavesPerEU: 65
; NumVGPRsForWavesPerEU: 42
; Occupancy: 5
; WaveLimiterHint : 0
; COMPUTE_PGM_RSRC2:SCRATCH_EN: 0
; COMPUTE_PGM_RSRC2:USER_SGPR: 6
; COMPUTE_PGM_RSRC2:TRAP_HANDLER: 0
; COMPUTE_PGM_RSRC2:TGID_X_EN: 1
; COMPUTE_PGM_RSRC2:TGID_Y_EN: 1
; COMPUTE_PGM_RSRC2:TGID_Z_EN: 1
; COMPUTE_PGM_RSRC2:TIDIG_COMP_CNT: 1
	.section	.text._ZL24rocblas_symm_hemm_kernelILb1ELb0ELi32E19rocblas_complex_numIfEPKS1_PS1_EvbiiT2_T3_lllS6_lllT4_llli,"axG",@progbits,_ZL24rocblas_symm_hemm_kernelILb1ELb0ELi32E19rocblas_complex_numIfEPKS1_PS1_EvbiiT2_T3_lllS6_lllT4_llli,comdat
	.globl	_ZL24rocblas_symm_hemm_kernelILb1ELb0ELi32E19rocblas_complex_numIfEPKS1_PS1_EvbiiT2_T3_lllS6_lllT4_llli ; -- Begin function _ZL24rocblas_symm_hemm_kernelILb1ELb0ELi32E19rocblas_complex_numIfEPKS1_PS1_EvbiiT2_T3_lllS6_lllT4_llli
	.p2align	8
	.type	_ZL24rocblas_symm_hemm_kernelILb1ELb0ELi32E19rocblas_complex_numIfEPKS1_PS1_EvbiiT2_T3_lllS6_lllT4_llli,@function
_ZL24rocblas_symm_hemm_kernelILb1ELb0ELi32E19rocblas_complex_numIfEPKS1_PS1_EvbiiT2_T3_lllS6_lllT4_llli: ; @_ZL24rocblas_symm_hemm_kernelILb1ELb0ELi32E19rocblas_complex_numIfEPKS1_PS1_EvbiiT2_T3_lllS6_lllT4_llli
; %bb.0:
	s_load_dwordx4 s[28:31], s[4:5], 0x0
	s_load_dword s33, s[4:5], 0x10
	s_waitcnt lgkmcnt(0)
	v_cmp_eq_f32_e64 s[0:1], s31, 0
	v_cmp_eq_f32_e64 s[2:3], s33, 0
	s_and_b64 s[0:1], s[0:1], s[2:3]
	s_and_b64 vcc, exec, s[0:1]
	s_cbranch_vccnz .LBB26_21
; %bb.1:
	s_add_i32 s0, s30, -1
	s_ashr_i32 s1, s0, 31
	s_lshr_b32 s1, s1, 27
	s_add_i32 s0, s0, s1
	s_ashr_i32 s34, s0, 5
	s_cmp_gt_i32 s7, s34
	s_cbranch_scc1 .LBB26_21
; %bb.2:
	s_load_dwordx16 s[12:27], s[4:5], 0x18
	s_load_dwordx8 s[36:43], s[4:5], 0x58
	v_lshl_add_u32 v10, s6, 5, v0
	v_ashrrev_i32_e32 v11, 31, v10
	v_lshlrev_b64 v[2:3], 3, v[10:11]
	s_waitcnt lgkmcnt(0)
	s_mul_i32 s1, s27, s8
	s_mul_hi_u32 s2, s26, s8
	s_mul_i32 s0, s26, s8
	s_add_i32 s1, s2, s1
	s_lshl_b64 s[0:1], s[0:1], 3
	s_add_u32 s2, s20, s0
	s_addc_u32 s3, s21, s1
	s_lshl_b64 s[0:1], s[22:23], 3
	s_add_u32 s20, s2, s0
	s_addc_u32 s21, s3, s1
	s_bitcmp1_b32 s28, 0
	s_mul_i32 s2, s43, s8
	s_mul_hi_u32 s3, s42, s8
	s_cselect_b64 s[0:1], -1, 0
	s_add_i32 s3, s3, s2
	s_mul_i32 s2, s42, s8
	s_lshl_b64 s[2:3], s[2:3], 3
	s_add_u32 s9, s36, s2
	s_addc_u32 s10, s37, s3
	s_lshl_b64 s[2:3], s[38:39], 3
	s_add_u32 s9, s9, s2
	s_addc_u32 s10, s10, s3
	s_mul_i32 s2, s19, s8
	s_mul_hi_u32 s3, s18, s8
	s_add_i32 s3, s3, s2
	s_mul_i32 s2, s18, s8
	s_lshl_b64 s[2:3], s[2:3], 3
	s_add_u32 s8, s12, s2
	s_addc_u32 s11, s13, s3
	s_lshl_b64 s[2:3], s[14:15], 3
	s_add_u32 s8, s8, s2
	s_addc_u32 s11, s11, s3
	v_mul_lo_u32 v7, s16, v11
	v_mul_lo_u32 v8, s17, v10
	v_mad_u64_u32 v[4:5], s[2:3], s16, v10, 0
	v_mov_b32_e32 v6, s11
	v_add_co_u32_e32 v15, vcc, s8, v2
	v_add3_u32 v5, v5, v7, v8
	v_lshlrev_b64 v[4:5], 3, v[4:5]
	v_addc_co_u32_e32 v16, vcc, v6, v3, vcc
	v_add_co_u32_e32 v17, vcc, s8, v4
	v_addc_co_u32_e32 v18, vcc, v6, v5, vcc
	v_lshlrev_b32_e32 v19, 8, v0
	v_lshlrev_b32_e32 v6, 3, v1
	s_load_dword s6, s[4:5], 0x84
	s_cmp_gt_i32 s29, 0
	v_add_u32_e32 v20, v19, v6
	v_or_b32_e32 v21, 0x2000, v6
	v_mov_b32_e32 v6, s10
	v_add_co_u32_e32 v22, vcc, s9, v2
	v_addc_co_u32_e32 v23, vcc, v6, v3, vcc
	s_cselect_b64 s[4:5], -1, 0
	v_add_co_u32_e32 v11, vcc, v15, v4
	v_cndmask_b32_e64 v2, 0, 1, s[4:5]
	v_cmp_gt_i32_e64 s[2:3], s29, v10
	v_addc_co_u32_e32 v12, vcc, v16, v5, vcc
	v_cmp_ne_u32_e64 s[4:5], 1, v2
	s_branch .LBB26_4
.LBB26_3:                               ;   in Loop: Header=BB26_4 Depth=1
	s_waitcnt lgkmcnt(0)
	s_add_i32 s7, s7, s6
	s_cmp_gt_i32 s7, s34
	s_cbranch_scc1 .LBB26_21
.LBB26_4:                               ; =>This Loop Header: Depth=1
                                        ;     Child Loop BB26_7 Depth 2
	s_and_b64 vcc, exec, s[4:5]
	s_cbranch_vccnz .LBB26_3
; %bb.5:                                ;   in Loop: Header=BB26_4 Depth=1
	v_lshl_add_u32 v4, s7, 5, v1
	v_ashrrev_i32_e32 v5, 31, v4
	v_mul_lo_u32 v6, s24, v5
	v_mul_lo_u32 v7, s25, v4
	v_mad_u64_u32 v[2:3], s[8:9], s24, v4, 0
	v_cmp_gt_i32_e32 vcc, s30, v4
	v_mul_lo_u32 v8, s41, v4
	v_add3_u32 v3, v3, v6, v7
	v_mul_lo_u32 v7, s40, v5
	v_mad_u64_u32 v[4:5], s[8:9], s40, v4, 0
	v_lshlrev_b64 v[2:3], 3, v[2:3]
	v_mov_b32_e32 v6, s21
	v_add_co_u32_e64 v24, s[8:9], s20, v2
	v_add3_u32 v5, v5, v7, v8
	v_addc_co_u32_e64 v25, s[8:9], v6, v3, s[8:9]
	v_lshlrev_b64 v[2:3], 3, v[4:5]
	s_and_b64 s[12:13], s[2:3], vcc
	v_add_co_u32_e64 v13, s[8:9], v22, v2
	v_addc_co_u32_e64 v14, s[8:9], v23, v3, s[8:9]
	s_mov_b32 s22, 0
	s_branch .LBB26_7
.LBB26_6:                               ;   in Loop: Header=BB26_7 Depth=2
	s_or_b64 exec, exec, s[8:9]
	s_add_i32 s22, s22, 32
	s_cmp_ge_i32 s22, s29
	s_waitcnt vmcnt(0)
	s_barrier
	s_cbranch_scc1 .LBB26_3
.LBB26_7:                               ;   Parent Loop BB26_4 Depth=1
                                        ; =>  This Inner Loop Header: Depth=2
	v_add_u32_e32 v5, s22, v1
	v_cndmask_b32_e64 v2, v5, v10, s[0:1]
	v_cndmask_b32_e64 v3, v10, v5, s[0:1]
	v_cmp_gt_i32_e64 s[10:11], v2, v3
	v_cmp_le_i32_e64 s[8:9], v2, v3
	v_cndmask_b32_e64 v2, v10, v5, s[10:11]
	v_cndmask_b32_e64 v3, v5, v10, s[10:11]
	v_max_i32_e32 v2, v2, v3
	v_cmp_gt_i32_e64 s[10:11], s29, v2
	v_mov_b32_e32 v2, 0
	v_mov_b32_e32 v3, 0
	;; [unrolled: 1-line block ×3, first 2 shown]
	s_and_saveexec_b64 s[14:15], s[10:11]
	s_cbranch_execz .LBB26_17
; %bb.8:                                ;   in Loop: Header=BB26_7 Depth=2
                                        ; implicit-def: $vgpr4
	s_and_saveexec_b64 s[10:11], s[8:9]
	s_xor_b64 s[10:11], exec, s[10:11]
	s_cbranch_execz .LBB26_14
; %bb.9:                                ;   in Loop: Header=BB26_7 Depth=2
	v_cmp_ne_u32_e64 s[8:9], v5, v10
                                        ; implicit-def: $vgpr4
	s_and_saveexec_b64 s[18:19], s[8:9]
	s_xor_b64 s[18:19], exec, s[18:19]
	s_cbranch_execz .LBB26_11
; %bb.10:                               ;   in Loop: Header=BB26_7 Depth=2
	v_ashrrev_i32_e32 v6, 31, v5
	v_mul_lo_u32 v7, s17, v5
	v_mad_u64_u32 v[3:4], s[8:9], s16, v5, 0
	v_mul_lo_u32 v5, s16, v6
	v_add3_u32 v4, v4, v5, v7
	v_lshlrev_b64 v[3:4], 3, v[3:4]
	v_add_co_u32_e64 v3, s[8:9], v15, v3
	v_addc_co_u32_e64 v4, s[8:9], v16, v4, s[8:9]
	global_load_dwordx2 v[3:4], v[3:4], off
.LBB26_11:                              ;   in Loop: Header=BB26_7 Depth=2
	s_andn2_saveexec_b64 s[8:9], s[18:19]
	s_cbranch_execz .LBB26_13
; %bb.12:                               ;   in Loop: Header=BB26_7 Depth=2
	global_load_dword v3, v[11:12], off
	s_waitcnt vmcnt(1)
	v_mov_b32_e32 v4, 0
.LBB26_13:                              ;   in Loop: Header=BB26_7 Depth=2
	s_or_b64 exec, exec, s[8:9]
                                        ; implicit-def: $vgpr5
.LBB26_14:                              ;   in Loop: Header=BB26_7 Depth=2
	s_andn2_saveexec_b64 s[10:11], s[10:11]
	s_cbranch_execz .LBB26_16
; %bb.15:                               ;   in Loop: Header=BB26_7 Depth=2
	v_ashrrev_i32_e32 v6, 31, v5
	s_waitcnt vmcnt(0)
	v_lshlrev_b64 v[3:4], 3, v[5:6]
	v_add_co_u32_e64 v3, s[8:9], v17, v3
	v_addc_co_u32_e64 v4, s[8:9], v18, v4, s[8:9]
	global_load_dwordx2 v[3:4], v[3:4], off
	s_waitcnt vmcnt(0)
	v_xor_b32_e32 v4, 0x80000000, v4
.LBB26_16:                              ;   in Loop: Header=BB26_7 Depth=2
	s_or_b64 exec, exec, s[10:11]
.LBB26_17:                              ;   in Loop: Header=BB26_7 Depth=2
	s_or_b64 exec, exec, s[14:15]
	s_waitcnt vmcnt(0)
	ds_write_b64 v20, v[3:4]
	v_add_u32_e32 v4, s22, v0
	v_cmp_gt_i32_e64 s[8:9], s29, v4
	s_and_b64 s[8:9], s[8:9], vcc
	v_mov_b32_e32 v3, 0
	s_and_saveexec_b64 s[10:11], s[8:9]
	s_cbranch_execz .LBB26_19
; %bb.18:                               ;   in Loop: Header=BB26_7 Depth=2
	v_ashrrev_i32_e32 v5, 31, v4
	v_lshlrev_b64 v[2:3], 3, v[4:5]
	v_add_co_u32_e64 v2, s[8:9], v24, v2
	v_addc_co_u32_e64 v3, s[8:9], v25, v3, s[8:9]
	global_load_dwordx2 v[2:3], v[2:3], off
.LBB26_19:                              ;   in Loop: Header=BB26_7 Depth=2
	s_or_b64 exec, exec, s[10:11]
	v_add_u32_e32 v4, v21, v19
	s_waitcnt vmcnt(0)
	ds_write_b64 v4, v[2:3]
	s_waitcnt lgkmcnt(0)
	s_barrier
	s_and_saveexec_b64 s[8:9], s[12:13]
	s_cbranch_execz .LBB26_6
; %bb.20:                               ;   in Loop: Header=BB26_7 Depth=2
	ds_read2_b64 v[2:5], v21 offset1:32
	ds_read_b128 v[6:9], v19
	ds_read_b128 v[26:29], v19 offset:16
	ds_read_b128 v[30:33], v19 offset:32
	;; [unrolled: 1-line block ×3, first 2 shown]
	s_waitcnt lgkmcnt(3)
	v_mul_f32_e32 v38, v3, v7
	v_fma_f32 v38, v2, v6, -v38
	v_mul_f32_e32 v7, v2, v7
	v_mul_f32_e32 v2, v5, v9
	;; [unrolled: 1-line block ×3, first 2 shown]
	v_fmac_f32_e32 v7, v3, v6
	v_fma_f32 v6, v4, v8, -v2
	v_fmac_f32_e32 v9, v5, v8
	ds_read2_b64 v[2:5], v21 offset0:64 offset1:96
	v_add_f32_e32 v8, 0, v38
	v_add_f32_e32 v6, v8, v6
	;; [unrolled: 1-line block ×4, first 2 shown]
	s_waitcnt lgkmcnt(0)
	v_mul_f32_e32 v8, v3, v27
	v_fma_f32 v8, v2, v26, -v8
	v_mul_f32_e32 v2, v2, v27
	v_fmac_f32_e32 v2, v3, v26
	v_add_f32_e32 v3, v6, v8
	v_mul_f32_e32 v6, v5, v29
	v_add_f32_e32 v2, v7, v2
	v_fma_f32 v26, v4, v28, -v6
	ds_read2_b64 v[6:9], v21 offset0:128 offset1:160
	v_mul_f32_e32 v4, v4, v29
	v_fmac_f32_e32 v4, v5, v28
	v_add_f32_e32 v2, v2, v4
	v_add_f32_e32 v3, v3, v26
	s_waitcnt lgkmcnt(0)
	v_mul_f32_e32 v5, v6, v31
	v_mul_f32_e32 v4, v7, v31
	v_fmac_f32_e32 v5, v7, v30
	v_fma_f32 v4, v6, v30, -v4
	v_add_f32_e32 v7, v2, v5
	v_mul_f32_e32 v2, v9, v33
	v_add_f32_e32 v6, v3, v4
	v_fma_f32 v26, v8, v32, -v2
	ds_read2_b64 v[2:5], v21 offset0:192 offset1:224
	v_mul_f32_e32 v8, v8, v33
	v_fmac_f32_e32 v8, v9, v32
	v_add_f32_e32 v7, v7, v8
	v_add_f32_e32 v6, v6, v26
	s_waitcnt lgkmcnt(0)
	v_mul_f32_e32 v8, v3, v35
	v_fma_f32 v8, v2, v34, -v8
	v_mul_f32_e32 v2, v2, v35
	v_fmac_f32_e32 v2, v3, v34
	v_add_f32_e32 v3, v6, v8
	v_mul_f32_e32 v6, v5, v37
	v_add_u32_e32 v34, 0x800, v21
	v_add_f32_e32 v2, v7, v2
	v_fma_f32 v30, v4, v36, -v6
	ds_read_b128 v[6:9], v19 offset:64
	ds_read2_b64 v[26:29], v34 offset1:32
	v_mul_f32_e32 v4, v4, v37
	v_fmac_f32_e32 v4, v5, v36
	v_add_f32_e32 v30, v3, v30
	v_add_f32_e32 v31, v2, v4
	ds_read_b128 v[2:5], v19 offset:80
	s_waitcnt lgkmcnt(1)
	v_mul_f32_e32 v32, v27, v7
	v_mul_f32_e32 v7, v26, v7
	v_fma_f32 v32, v26, v6, -v32
	v_fmac_f32_e32 v7, v27, v6
	v_add_f32_e32 v6, v30, v32
	v_add_f32_e32 v7, v31, v7
	ds_read2_b64 v[30:33], v34 offset0:64 offset1:96
	v_mul_f32_e32 v26, v29, v9
	v_mul_f32_e32 v9, v28, v9
	v_fma_f32 v26, v28, v8, -v26
	v_fmac_f32_e32 v9, v29, v8
	s_waitcnt lgkmcnt(0)
	v_mul_f32_e32 v8, v31, v3
	v_add_f32_e32 v6, v6, v26
	v_fma_f32 v8, v30, v2, -v8
	v_mul_f32_e32 v3, v30, v3
	v_add_f32_e32 v7, v7, v9
	v_fmac_f32_e32 v3, v31, v2
	v_add_f32_e32 v2, v6, v8
	v_mul_f32_e32 v6, v33, v5
	v_add_f32_e32 v3, v7, v3
	v_fma_f32 v9, v32, v4, -v6
	v_mul_f32_e32 v30, v32, v5
	ds_read_b128 v[5:8], v19 offset:96
	ds_read2_b64 v[26:29], v34 offset0:128 offset1:160
	v_fmac_f32_e32 v30, v33, v4
	v_add_f32_e32 v2, v2, v9
	v_add_f32_e32 v3, v3, v30
	ds_read_b128 v[30:33], v19 offset:112
	s_waitcnt lgkmcnt(1)
	v_mul_f32_e32 v4, v27, v6
	v_fma_f32 v4, v26, v5, -v4
	v_mul_f32_e32 v6, v26, v6
	v_fmac_f32_e32 v6, v27, v5
	v_add_f32_e32 v9, v2, v4
	v_mul_f32_e32 v2, v29, v8
	v_add_f32_e32 v6, v3, v6
	v_fma_f32 v26, v28, v7, -v2
	ds_read2_b64 v[2:5], v34 offset0:192 offset1:224
	v_mul_f32_e32 v8, v28, v8
	v_fmac_f32_e32 v8, v29, v7
	v_add_f32_e32 v6, v6, v8
	v_add_f32_e32 v7, v9, v26
	s_waitcnt lgkmcnt(0)
	v_mul_f32_e32 v8, v3, v31
	v_fma_f32 v8, v2, v30, -v8
	v_mul_f32_e32 v2, v2, v31
	v_fmac_f32_e32 v2, v3, v30
	v_add_f32_e32 v2, v6, v2
	v_mul_f32_e32 v6, v5, v33
	v_add_u32_e32 v26, 0x1000, v21
	v_add_f32_e32 v3, v7, v8
	v_fma_f32 v31, v4, v32, -v6
	ds_read_b128 v[6:9], v19 offset:128
	ds_read2_b64 v[27:30], v26 offset1:32
	v_mul_f32_e32 v4, v4, v33
	v_fmac_f32_e32 v4, v5, v32
	v_add_f32_e32 v3, v3, v31
	ds_read_b128 v[31:34], v19 offset:144
	ds_read2_b64 v[35:38], v26 offset0:64 offset1:96
	s_waitcnt lgkmcnt(2)
	v_mul_f32_e32 v5, v27, v7
	v_add_f32_e32 v2, v2, v4
	v_mul_f32_e32 v4, v28, v7
	v_fmac_f32_e32 v5, v28, v6
	v_fma_f32 v4, v27, v6, -v4
	v_add_f32_e32 v2, v2, v5
	v_mul_f32_e32 v5, v29, v9
	v_add_f32_e32 v3, v3, v4
	v_mul_f32_e32 v4, v30, v9
	v_fmac_f32_e32 v5, v30, v8
	v_fma_f32 v4, v29, v8, -v4
	v_add_f32_e32 v2, v2, v5
	s_waitcnt lgkmcnt(0)
	v_mul_f32_e32 v5, v35, v32
	v_add_f32_e32 v3, v3, v4
	v_mul_f32_e32 v4, v36, v32
	v_fmac_f32_e32 v5, v36, v31
	v_fma_f32 v4, v35, v31, -v4
	v_add_f32_e32 v28, v2, v5
	v_mul_f32_e32 v2, v38, v34
	v_add_f32_e32 v27, v3, v4
	v_fma_f32 v29, v37, v33, -v2
	ds_read_b128 v[2:5], v19 offset:160
	ds_read2_b64 v[6:9], v26 offset0:128 offset1:160
	global_load_dwordx2 v[35:36], v[13:14], off
	v_mul_f32_e32 v30, v37, v34
	v_fmac_f32_e32 v30, v38, v33
	v_add_f32_e32 v31, v27, v29
	s_waitcnt lgkmcnt(0)
	v_mul_f32_e32 v33, v7, v3
	v_mul_f32_e32 v3, v6, v3
	v_add_f32_e32 v32, v28, v30
	v_fma_f32 v33, v6, v2, -v33
	v_fmac_f32_e32 v3, v7, v2
	ds_read_b128 v[27:30], v19 offset:176
	v_add_f32_e32 v2, v31, v33
	v_add_f32_e32 v3, v32, v3
	ds_read2_b64 v[31:34], v26 offset0:192 offset1:224
	v_mul_f32_e32 v6, v9, v5
	v_mul_f32_e32 v5, v8, v5
	v_fma_f32 v6, v8, v4, -v6
	v_fmac_f32_e32 v5, v9, v4
	s_waitcnt lgkmcnt(0)
	v_mul_f32_e32 v4, v32, v28
	v_add_f32_e32 v2, v2, v6
	v_add_f32_e32 v3, v3, v5
	v_fma_f32 v4, v31, v27, -v4
	v_mul_f32_e32 v5, v31, v28
	v_fmac_f32_e32 v5, v32, v27
	v_add_f32_e32 v26, v2, v4
	v_mul_f32_e32 v2, v34, v30
	v_add_u32_e32 v37, 0x1800, v21
	v_add_f32_e32 v27, v3, v5
	v_fma_f32 v28, v33, v29, -v2
	ds_read_b128 v[2:5], v19 offset:192
	ds_read2_b64 v[6:9], v37 offset1:32
	v_mul_f32_e32 v30, v33, v30
	v_fmac_f32_e32 v30, v34, v29
	v_add_f32_e32 v31, v26, v28
	v_add_f32_e32 v30, v27, v30
	ds_read_b128 v[26:29], v19 offset:208
	s_waitcnt lgkmcnt(1)
	v_mul_f32_e32 v32, v7, v3
	v_mul_f32_e32 v3, v6, v3
	v_fma_f32 v32, v6, v2, -v32
	v_fmac_f32_e32 v3, v7, v2
	v_add_f32_e32 v2, v31, v32
	v_add_f32_e32 v3, v30, v3
	ds_read2_b64 v[30:33], v37 offset0:64 offset1:96
	v_mul_f32_e32 v6, v9, v5
	v_mul_f32_e32 v5, v8, v5
	v_fma_f32 v6, v8, v4, -v6
	v_fmac_f32_e32 v5, v9, v4
	s_waitcnt lgkmcnt(0)
	v_mul_f32_e32 v4, v31, v27
	v_add_f32_e32 v2, v2, v6
	v_add_f32_e32 v3, v3, v5
	v_fma_f32 v4, v30, v26, -v4
	v_mul_f32_e32 v5, v30, v27
	v_fmac_f32_e32 v5, v31, v26
	v_add_f32_e32 v26, v2, v4
	v_mul_f32_e32 v2, v33, v29
	v_add_f32_e32 v27, v3, v5
	v_fma_f32 v30, v32, v28, -v2
	ds_read_b128 v[2:5], v19 offset:224
	ds_read2_b64 v[6:9], v37 offset0:128 offset1:160
	v_mul_f32_e32 v29, v32, v29
	v_fmac_f32_e32 v29, v33, v28
	v_add_f32_e32 v30, v26, v30
	v_add_f32_e32 v31, v27, v29
	s_waitcnt lgkmcnt(0)
	v_mul_f32_e32 v32, v7, v3
	v_mul_f32_e32 v3, v6, v3
	v_fma_f32 v32, v6, v2, -v32
	v_fmac_f32_e32 v3, v7, v2
	ds_read_b128 v[26:29], v19 offset:240
	v_add_f32_e32 v2, v30, v32
	v_add_f32_e32 v3, v31, v3
	ds_read2_b64 v[30:33], v37 offset0:192 offset1:224
	v_mul_f32_e32 v6, v9, v5
	v_mul_f32_e32 v5, v8, v5
	v_fmac_f32_e32 v5, v9, v4
	v_fma_f32 v6, v8, v4, -v6
	v_add_f32_e32 v3, v3, v5
	s_waitcnt lgkmcnt(0)
	v_mul_f32_e32 v4, v31, v27
	v_mul_f32_e32 v5, v30, v27
	v_add_f32_e32 v2, v2, v6
	v_fma_f32 v4, v30, v26, -v4
	v_fmac_f32_e32 v5, v31, v26
	v_add_f32_e32 v2, v2, v4
	v_add_f32_e32 v3, v3, v5
	v_mul_f32_e32 v4, v33, v29
	v_mul_f32_e32 v5, v32, v29
	v_fma_f32 v4, v32, v28, -v4
	v_fmac_f32_e32 v5, v33, v28
	v_add_f32_e32 v2, v2, v4
	v_add_f32_e32 v3, v3, v5
	v_mul_f32_e32 v4, s33, v3
	v_mul_f32_e32 v5, s33, v2
	v_fma_f32 v4, s31, v2, -v4
	v_fmac_f32_e32 v5, s31, v3
	s_waitcnt vmcnt(0)
	v_add_f32_e32 v2, v35, v4
	v_add_f32_e32 v3, v36, v5
	global_store_dwordx2 v[13:14], v[2:3], off
	s_branch .LBB26_6
.LBB26_21:
	s_endpgm
	.section	.rodata,"a",@progbits
	.p2align	6, 0x0
	.amdhsa_kernel _ZL24rocblas_symm_hemm_kernelILb1ELb0ELi32E19rocblas_complex_numIfEPKS1_PS1_EvbiiT2_T3_lllS6_lllT4_llli
		.amdhsa_group_segment_fixed_size 16384
		.amdhsa_private_segment_fixed_size 0
		.amdhsa_kernarg_size 384
		.amdhsa_user_sgpr_count 6
		.amdhsa_user_sgpr_private_segment_buffer 1
		.amdhsa_user_sgpr_dispatch_ptr 0
		.amdhsa_user_sgpr_queue_ptr 0
		.amdhsa_user_sgpr_kernarg_segment_ptr 1
		.amdhsa_user_sgpr_dispatch_id 0
		.amdhsa_user_sgpr_flat_scratch_init 0
		.amdhsa_user_sgpr_private_segment_size 0
		.amdhsa_uses_dynamic_stack 0
		.amdhsa_system_sgpr_private_segment_wavefront_offset 0
		.amdhsa_system_sgpr_workgroup_id_x 1
		.amdhsa_system_sgpr_workgroup_id_y 1
		.amdhsa_system_sgpr_workgroup_id_z 1
		.amdhsa_system_sgpr_workgroup_info 0
		.amdhsa_system_vgpr_workitem_id 1
		.amdhsa_next_free_vgpr 39
		.amdhsa_next_free_sgpr 61
		.amdhsa_reserve_vcc 1
		.amdhsa_reserve_flat_scratch 0
		.amdhsa_float_round_mode_32 0
		.amdhsa_float_round_mode_16_64 0
		.amdhsa_float_denorm_mode_32 3
		.amdhsa_float_denorm_mode_16_64 3
		.amdhsa_dx10_clamp 1
		.amdhsa_ieee_mode 1
		.amdhsa_fp16_overflow 0
		.amdhsa_exception_fp_ieee_invalid_op 0
		.amdhsa_exception_fp_denorm_src 0
		.amdhsa_exception_fp_ieee_div_zero 0
		.amdhsa_exception_fp_ieee_overflow 0
		.amdhsa_exception_fp_ieee_underflow 0
		.amdhsa_exception_fp_ieee_inexact 0
		.amdhsa_exception_int_div_zero 0
	.end_amdhsa_kernel
	.section	.text._ZL24rocblas_symm_hemm_kernelILb1ELb0ELi32E19rocblas_complex_numIfEPKS1_PS1_EvbiiT2_T3_lllS6_lllT4_llli,"axG",@progbits,_ZL24rocblas_symm_hemm_kernelILb1ELb0ELi32E19rocblas_complex_numIfEPKS1_PS1_EvbiiT2_T3_lllS6_lllT4_llli,comdat
.Lfunc_end26:
	.size	_ZL24rocblas_symm_hemm_kernelILb1ELb0ELi32E19rocblas_complex_numIfEPKS1_PS1_EvbiiT2_T3_lllS6_lllT4_llli, .Lfunc_end26-_ZL24rocblas_symm_hemm_kernelILb1ELb0ELi32E19rocblas_complex_numIfEPKS1_PS1_EvbiiT2_T3_lllS6_lllT4_llli
                                        ; -- End function
	.set _ZL24rocblas_symm_hemm_kernelILb1ELb0ELi32E19rocblas_complex_numIfEPKS1_PS1_EvbiiT2_T3_lllS6_lllT4_llli.num_vgpr, 39
	.set _ZL24rocblas_symm_hemm_kernelILb1ELb0ELi32E19rocblas_complex_numIfEPKS1_PS1_EvbiiT2_T3_lllS6_lllT4_llli.num_agpr, 0
	.set _ZL24rocblas_symm_hemm_kernelILb1ELb0ELi32E19rocblas_complex_numIfEPKS1_PS1_EvbiiT2_T3_lllS6_lllT4_llli.numbered_sgpr, 44
	.set _ZL24rocblas_symm_hemm_kernelILb1ELb0ELi32E19rocblas_complex_numIfEPKS1_PS1_EvbiiT2_T3_lllS6_lllT4_llli.num_named_barrier, 0
	.set _ZL24rocblas_symm_hemm_kernelILb1ELb0ELi32E19rocblas_complex_numIfEPKS1_PS1_EvbiiT2_T3_lllS6_lllT4_llli.private_seg_size, 0
	.set _ZL24rocblas_symm_hemm_kernelILb1ELb0ELi32E19rocblas_complex_numIfEPKS1_PS1_EvbiiT2_T3_lllS6_lllT4_llli.uses_vcc, 1
	.set _ZL24rocblas_symm_hemm_kernelILb1ELb0ELi32E19rocblas_complex_numIfEPKS1_PS1_EvbiiT2_T3_lllS6_lllT4_llli.uses_flat_scratch, 0
	.set _ZL24rocblas_symm_hemm_kernelILb1ELb0ELi32E19rocblas_complex_numIfEPKS1_PS1_EvbiiT2_T3_lllS6_lllT4_llli.has_dyn_sized_stack, 0
	.set _ZL24rocblas_symm_hemm_kernelILb1ELb0ELi32E19rocblas_complex_numIfEPKS1_PS1_EvbiiT2_T3_lllS6_lllT4_llli.has_recursion, 0
	.set _ZL24rocblas_symm_hemm_kernelILb1ELb0ELi32E19rocblas_complex_numIfEPKS1_PS1_EvbiiT2_T3_lllS6_lllT4_llli.has_indirect_call, 0
	.section	.AMDGPU.csdata,"",@progbits
; Kernel info:
; codeLenInByte = 2268
; TotalNumSgprs: 48
; NumVgprs: 39
; ScratchSize: 0
; MemoryBound: 0
; FloatMode: 240
; IeeeMode: 1
; LDSByteSize: 16384 bytes/workgroup (compile time only)
; SGPRBlocks: 8
; VGPRBlocks: 9
; NumSGPRsForWavesPerEU: 65
; NumVGPRsForWavesPerEU: 39
; Occupancy: 6
; WaveLimiterHint : 0
; COMPUTE_PGM_RSRC2:SCRATCH_EN: 0
; COMPUTE_PGM_RSRC2:USER_SGPR: 6
; COMPUTE_PGM_RSRC2:TRAP_HANDLER: 0
; COMPUTE_PGM_RSRC2:TGID_X_EN: 1
; COMPUTE_PGM_RSRC2:TGID_Y_EN: 1
; COMPUTE_PGM_RSRC2:TGID_Z_EN: 1
; COMPUTE_PGM_RSRC2:TIDIG_COMP_CNT: 1
	.section	.text._ZL24rocblas_symm_hemm_kernelILb1ELb1ELi32E19rocblas_complex_numIfEPKS1_PS1_EvbiiT2_T3_lllS6_lllT4_llli,"axG",@progbits,_ZL24rocblas_symm_hemm_kernelILb1ELb1ELi32E19rocblas_complex_numIfEPKS1_PS1_EvbiiT2_T3_lllS6_lllT4_llli,comdat
	.globl	_ZL24rocblas_symm_hemm_kernelILb1ELb1ELi32E19rocblas_complex_numIfEPKS1_PS1_EvbiiT2_T3_lllS6_lllT4_llli ; -- Begin function _ZL24rocblas_symm_hemm_kernelILb1ELb1ELi32E19rocblas_complex_numIfEPKS1_PS1_EvbiiT2_T3_lllS6_lllT4_llli
	.p2align	8
	.type	_ZL24rocblas_symm_hemm_kernelILb1ELb1ELi32E19rocblas_complex_numIfEPKS1_PS1_EvbiiT2_T3_lllS6_lllT4_llli,@function
_ZL24rocblas_symm_hemm_kernelILb1ELb1ELi32E19rocblas_complex_numIfEPKS1_PS1_EvbiiT2_T3_lllS6_lllT4_llli: ; @_ZL24rocblas_symm_hemm_kernelILb1ELb1ELi32E19rocblas_complex_numIfEPKS1_PS1_EvbiiT2_T3_lllS6_lllT4_llli
; %bb.0:
	s_load_dwordx4 s[28:31], s[4:5], 0x0
	s_load_dword s33, s[4:5], 0x10
	s_waitcnt lgkmcnt(0)
	v_cmp_eq_f32_e64 s[0:1], s31, 0
	v_cmp_eq_f32_e64 s[2:3], s33, 0
	s_and_b64 s[0:1], s[0:1], s[2:3]
	s_and_b64 vcc, exec, s[0:1]
	s_cbranch_vccnz .LBB27_21
; %bb.1:
	s_add_i32 s0, s30, -1
	s_ashr_i32 s1, s0, 31
	s_lshr_b32 s1, s1, 27
	s_add_i32 s0, s0, s1
	s_ashr_i32 s34, s0, 5
	s_cmp_gt_i32 s7, s34
	s_cbranch_scc1 .LBB27_21
; %bb.2:
	s_load_dwordx16 s[12:27], s[4:5], 0x18
	s_load_dwordx8 s[36:43], s[4:5], 0x58
	v_lshl_add_u32 v2, s6, 5, v0
	v_ashrrev_i32_e32 v3, 31, v2
	s_load_dword s6, s[4:5], 0x84
	s_waitcnt lgkmcnt(0)
	s_mul_i32 s1, s19, s8
	s_mul_hi_u32 s2, s18, s8
	s_mul_i32 s0, s18, s8
	s_add_i32 s1, s2, s1
	s_lshl_b64 s[0:1], s[0:1], 3
	s_add_u32 s2, s12, s0
	s_addc_u32 s3, s13, s1
	s_lshl_b64 s[0:1], s[14:15], 3
	s_add_u32 s18, s2, s0
	s_addc_u32 s19, s3, s1
	s_bitcmp1_b32 s28, 0
	s_mul_i32 s2, s43, s8
	s_mul_hi_u32 s3, s42, s8
	s_cselect_b64 s[0:1], -1, 0
	s_add_i32 s3, s3, s2
	s_mul_i32 s2, s42, s8
	s_lshl_b64 s[2:3], s[2:3], 3
	s_add_u32 s9, s36, s2
	s_addc_u32 s10, s37, s3
	s_lshl_b64 s[2:3], s[38:39], 3
	s_add_u32 s11, s9, s2
	s_addc_u32 s10, s10, s3
	s_mul_i32 s2, s27, s8
	s_mul_hi_u32 s3, s26, s8
	s_add_i32 s3, s3, s2
	s_mul_i32 s2, s26, s8
	s_lshl_b64 s[2:3], s[2:3], 3
	s_add_u32 s8, s20, s2
	s_addc_u32 s9, s21, s3
	s_lshl_b64 s[2:3], s[22:23], 3
	s_add_u32 s12, s8, s2
	s_addc_u32 s13, s9, s3
	v_cmp_gt_i32_e64 s[2:3], s29, v2
	v_lshlrev_b64 v[2:3], 3, v[2:3]
	v_mov_b32_e32 v4, s13
	v_add_co_u32_e32 v15, vcc, s12, v2
	s_cmp_gt_i32 s30, 0
	v_addc_co_u32_e32 v16, vcc, v4, v3, vcc
	s_cselect_b64 s[8:9], -1, 0
	v_lshlrev_b32_e32 v17, 8, v0
	v_lshlrev_b32_e32 v4, 3, v1
	v_add_co_u32_e32 v21, vcc, s11, v2
	v_lshl_add_u32 v2, s7, 5, v1
	v_add_u32_e32 v18, v17, v4
	v_or_b32_e32 v19, 0x2000, v4
	v_mov_b32_e32 v4, s10
	v_sub_u32_e32 v23, 0, v2
	v_cndmask_b32_e64 v2, 0, 1, s[8:9]
	v_add_u32_e32 v20, v19, v17
	v_addc_co_u32_e32 v22, vcc, v4, v3, vcc
	s_lshl_b32 s20, s6, 5
	v_cmp_ne_u32_e64 s[4:5], 1, v2
	s_branch .LBB27_4
.LBB27_3:                               ;   in Loop: Header=BB27_4 Depth=1
	s_add_i32 s7, s7, s6
	s_cmp_gt_i32 s7, s34
	v_subrev_u32_e32 v23, s20, v23
	s_cbranch_scc1 .LBB27_21
.LBB27_4:                               ; =>This Loop Header: Depth=1
                                        ;     Child Loop BB27_7 Depth 2
	s_and_b64 vcc, exec, s[4:5]
	s_cbranch_vccnz .LBB27_3
; %bb.5:                                ;   in Loop: Header=BB27_4 Depth=1
	v_lshl_add_u32 v10, s7, 5, v1
	v_ashrrev_i32_e32 v11, 31, v10
	v_mul_lo_u32 v4, s17, v10
	v_mad_u64_u32 v[2:3], s[8:9], s16, v10, 0
	v_mul_lo_u32 v5, s16, v11
	v_mul_lo_u32 v7, s40, v11
	;; [unrolled: 1-line block ×3, first 2 shown]
	v_mov_b32_e32 v6, s19
	v_add3_u32 v3, v3, v5, v4
	v_lshlrev_b64 v[2:3], 3, v[2:3]
	v_mov_b32_e32 v4, s19
	v_add_co_u32_e32 v24, vcc, s18, v2
	v_addc_co_u32_e32 v25, vcc, v4, v3, vcc
	v_mad_u64_u32 v[4:5], s[8:9], s40, v10, 0
	v_lshlrev_b64 v[2:3], 3, v[10:11]
	v_add_u32_e32 v28, v0, v23
	v_add_co_u32_e32 v26, vcc, s18, v2
	v_add3_u32 v5, v5, v7, v8
	v_addc_co_u32_e32 v27, vcc, v6, v3, vcc
	v_lshlrev_b64 v[4:5], 3, v[4:5]
	v_cmp_gt_i32_e32 vcc, s30, v10
	s_and_b64 s[10:11], s[2:3], vcc
	v_add_co_u32_e32 v11, vcc, v21, v4
	v_addc_co_u32_e32 v12, vcc, v22, v5, vcc
	v_add_co_u32_e32 v13, vcc, v24, v2
	v_addc_co_u32_e32 v14, vcc, v25, v3, vcc
	s_mov_b32 s21, 0
	s_branch .LBB27_7
.LBB27_6:                               ;   in Loop: Header=BB27_7 Depth=2
	s_or_b64 exec, exec, s[8:9]
	s_add_i32 s21, s21, 32
	s_cmp_ge_i32 s21, s30
	s_waitcnt vmcnt(0)
	s_barrier
	s_cbranch_scc1 .LBB27_3
.LBB27_7:                               ;   Parent Loop BB27_4 Depth=1
                                        ; =>  This Inner Loop Header: Depth=2
	v_add_u32_e32 v5, s21, v1
	v_cmp_gt_i32_e32 vcc, s30, v5
	s_and_b64 s[12:13], s[2:3], vcc
	v_mov_b32_e32 v2, 0
	v_mov_b32_e32 v3, 0
	;; [unrolled: 1-line block ×3, first 2 shown]
	s_and_saveexec_b64 s[8:9], s[12:13]
	s_cbranch_execz .LBB27_9
; %bb.8:                                ;   in Loop: Header=BB27_7 Depth=2
	v_ashrrev_i32_e32 v6, 31, v5
	v_mul_lo_u32 v7, s25, v5
	v_mad_u64_u32 v[3:4], s[12:13], s24, v5, 0
	v_mul_lo_u32 v5, s24, v6
	v_add3_u32 v4, v4, v5, v7
	v_lshlrev_b64 v[3:4], 3, v[3:4]
	v_add_co_u32_e32 v3, vcc, v15, v3
	v_addc_co_u32_e32 v4, vcc, v16, v4, vcc
	global_load_dwordx2 v[3:4], v[3:4], off
.LBB27_9:                               ;   in Loop: Header=BB27_7 Depth=2
	s_or_b64 exec, exec, s[8:9]
	s_waitcnt vmcnt(0)
	ds_write_b64 v18, v[3:4]
	v_add_u32_e32 v4, s21, v0
	v_cndmask_b32_e64 v3, v10, v4, s[0:1]
	v_cndmask_b32_e64 v5, v4, v10, s[0:1]
	v_cmp_gt_i32_e64 s[8:9], v3, v5
	v_cmp_le_i32_e32 vcc, v3, v5
	v_cndmask_b32_e64 v3, v4, v10, s[8:9]
	v_cndmask_b32_e64 v5, v10, v4, s[8:9]
	v_max_i32_e32 v3, v3, v5
	v_cmp_gt_i32_e64 s[8:9], s30, v3
	v_mov_b32_e32 v3, 0
	s_and_saveexec_b64 s[12:13], s[8:9]
	s_cbranch_execz .LBB27_19
; %bb.10:                               ;   in Loop: Header=BB27_7 Depth=2
                                        ; implicit-def: $vgpr3
	s_and_saveexec_b64 s[8:9], vcc
	s_xor_b64 s[8:9], exec, s[8:9]
	s_cbranch_execz .LBB27_16
; %bb.11:                               ;   in Loop: Header=BB27_7 Depth=2
	v_add_u32_e32 v2, s21, v28
	v_cmp_ne_u32_e32 vcc, 0, v2
                                        ; implicit-def: $vgpr3
	s_and_saveexec_b64 s[14:15], vcc
	s_xor_b64 s[14:15], exec, s[14:15]
	s_cbranch_execz .LBB27_13
; %bb.12:                               ;   in Loop: Header=BB27_7 Depth=2
	v_ashrrev_i32_e32 v5, 31, v4
	v_lshlrev_b64 v[2:3], 3, v[4:5]
	v_add_co_u32_e32 v2, vcc, v24, v2
	v_addc_co_u32_e32 v3, vcc, v25, v3, vcc
	global_load_dwordx2 v[2:3], v[2:3], off
.LBB27_13:                              ;   in Loop: Header=BB27_7 Depth=2
	s_andn2_saveexec_b64 s[14:15], s[14:15]
	s_cbranch_execz .LBB27_15
; %bb.14:                               ;   in Loop: Header=BB27_7 Depth=2
	global_load_dword v2, v[13:14], off
	s_waitcnt vmcnt(1)
	v_mov_b32_e32 v3, 0
.LBB27_15:                              ;   in Loop: Header=BB27_7 Depth=2
	s_or_b64 exec, exec, s[14:15]
                                        ; implicit-def: $vgpr4
.LBB27_16:                              ;   in Loop: Header=BB27_7 Depth=2
	s_andn2_saveexec_b64 s[8:9], s[8:9]
	s_cbranch_execz .LBB27_18
; %bb.17:                               ;   in Loop: Header=BB27_7 Depth=2
	v_ashrrev_i32_e32 v5, 31, v4
	v_mul_lo_u32 v6, s17, v4
	s_waitcnt vmcnt(0)
	v_mad_u64_u32 v[2:3], s[14:15], s16, v4, 0
	v_mul_lo_u32 v4, s16, v5
	v_add3_u32 v3, v3, v4, v6
	v_lshlrev_b64 v[2:3], 3, v[2:3]
	v_add_co_u32_e32 v2, vcc, v26, v2
	v_addc_co_u32_e32 v3, vcc, v27, v3, vcc
	global_load_dwordx2 v[2:3], v[2:3], off
	s_waitcnt vmcnt(0)
	v_xor_b32_e32 v3, 0x80000000, v3
.LBB27_18:                              ;   in Loop: Header=BB27_7 Depth=2
	s_or_b64 exec, exec, s[8:9]
.LBB27_19:                              ;   in Loop: Header=BB27_7 Depth=2
	s_or_b64 exec, exec, s[12:13]
	s_waitcnt vmcnt(0)
	ds_write_b64 v20, v[2:3]
	s_waitcnt lgkmcnt(0)
	s_barrier
	s_and_saveexec_b64 s[8:9], s[10:11]
	s_cbranch_execz .LBB27_6
; %bb.20:                               ;   in Loop: Header=BB27_7 Depth=2
	ds_read2_b64 v[2:5], v19 offset1:32
	ds_read_b128 v[6:9], v17
	ds_read_b128 v[29:32], v17 offset:16
	ds_read_b128 v[33:36], v17 offset:32
	ds_read_b128 v[37:40], v17 offset:48
	s_waitcnt lgkmcnt(3)
	v_mul_f32_e32 v41, v3, v7
	v_fma_f32 v41, v2, v6, -v41
	v_mul_f32_e32 v7, v2, v7
	v_mul_f32_e32 v2, v5, v9
	;; [unrolled: 1-line block ×3, first 2 shown]
	v_fmac_f32_e32 v7, v3, v6
	v_fma_f32 v6, v4, v8, -v2
	v_fmac_f32_e32 v9, v5, v8
	ds_read2_b64 v[2:5], v19 offset0:64 offset1:96
	v_add_f32_e32 v8, 0, v41
	v_add_f32_e32 v6, v8, v6
	;; [unrolled: 1-line block ×4, first 2 shown]
	s_waitcnt lgkmcnt(0)
	v_mul_f32_e32 v8, v3, v30
	v_fma_f32 v8, v2, v29, -v8
	v_mul_f32_e32 v2, v2, v30
	v_fmac_f32_e32 v2, v3, v29
	v_add_f32_e32 v3, v6, v8
	v_mul_f32_e32 v6, v5, v32
	v_add_f32_e32 v2, v7, v2
	v_fma_f32 v29, v4, v31, -v6
	ds_read2_b64 v[6:9], v19 offset0:128 offset1:160
	v_mul_f32_e32 v4, v4, v32
	v_fmac_f32_e32 v4, v5, v31
	v_add_f32_e32 v2, v2, v4
	v_add_f32_e32 v3, v3, v29
	s_waitcnt lgkmcnt(0)
	v_mul_f32_e32 v5, v6, v34
	v_mul_f32_e32 v4, v7, v34
	v_fmac_f32_e32 v5, v7, v33
	v_fma_f32 v4, v6, v33, -v4
	v_add_f32_e32 v7, v2, v5
	v_mul_f32_e32 v2, v9, v36
	v_add_f32_e32 v6, v3, v4
	v_fma_f32 v29, v8, v35, -v2
	ds_read2_b64 v[2:5], v19 offset0:192 offset1:224
	v_mul_f32_e32 v8, v8, v36
	v_fmac_f32_e32 v8, v9, v35
	v_add_f32_e32 v7, v7, v8
	v_add_f32_e32 v6, v6, v29
	s_waitcnt lgkmcnt(0)
	v_mul_f32_e32 v8, v3, v38
	v_fma_f32 v8, v2, v37, -v8
	v_mul_f32_e32 v2, v2, v38
	v_fmac_f32_e32 v2, v3, v37
	v_add_f32_e32 v3, v6, v8
	v_mul_f32_e32 v6, v5, v40
	v_add_u32_e32 v37, 0x800, v19
	v_add_f32_e32 v2, v7, v2
	v_fma_f32 v33, v4, v39, -v6
	ds_read_b128 v[6:9], v17 offset:64
	ds_read2_b64 v[29:32], v37 offset1:32
	v_mul_f32_e32 v4, v4, v40
	v_fmac_f32_e32 v4, v5, v39
	v_add_f32_e32 v33, v3, v33
	v_add_f32_e32 v34, v2, v4
	ds_read_b128 v[2:5], v17 offset:80
	s_waitcnt lgkmcnt(1)
	v_mul_f32_e32 v35, v30, v7
	v_mul_f32_e32 v7, v29, v7
	v_fma_f32 v35, v29, v6, -v35
	v_fmac_f32_e32 v7, v30, v6
	v_add_f32_e32 v6, v33, v35
	v_add_f32_e32 v7, v34, v7
	ds_read2_b64 v[33:36], v37 offset0:64 offset1:96
	v_mul_f32_e32 v29, v32, v9
	v_mul_f32_e32 v9, v31, v9
	v_fma_f32 v29, v31, v8, -v29
	v_fmac_f32_e32 v9, v32, v8
	s_waitcnt lgkmcnt(0)
	v_mul_f32_e32 v8, v34, v3
	v_add_f32_e32 v6, v6, v29
	v_fma_f32 v8, v33, v2, -v8
	v_mul_f32_e32 v3, v33, v3
	v_add_f32_e32 v7, v7, v9
	v_fmac_f32_e32 v3, v34, v2
	v_add_f32_e32 v2, v6, v8
	v_mul_f32_e32 v6, v36, v5
	v_add_f32_e32 v3, v7, v3
	v_fma_f32 v9, v35, v4, -v6
	v_mul_f32_e32 v33, v35, v5
	ds_read_b128 v[5:8], v17 offset:96
	ds_read2_b64 v[29:32], v37 offset0:128 offset1:160
	v_fmac_f32_e32 v33, v36, v4
	v_add_f32_e32 v2, v2, v9
	v_add_f32_e32 v3, v3, v33
	ds_read_b128 v[33:36], v17 offset:112
	s_waitcnt lgkmcnt(1)
	v_mul_f32_e32 v4, v30, v6
	v_fma_f32 v4, v29, v5, -v4
	v_mul_f32_e32 v6, v29, v6
	v_fmac_f32_e32 v6, v30, v5
	v_add_f32_e32 v9, v2, v4
	v_mul_f32_e32 v2, v32, v8
	v_add_f32_e32 v6, v3, v6
	v_fma_f32 v29, v31, v7, -v2
	ds_read2_b64 v[2:5], v37 offset0:192 offset1:224
	v_mul_f32_e32 v8, v31, v8
	v_fmac_f32_e32 v8, v32, v7
	v_add_f32_e32 v6, v6, v8
	v_add_f32_e32 v7, v9, v29
	s_waitcnt lgkmcnt(0)
	v_mul_f32_e32 v8, v3, v34
	v_fma_f32 v8, v2, v33, -v8
	v_mul_f32_e32 v2, v2, v34
	v_fmac_f32_e32 v2, v3, v33
	v_add_f32_e32 v2, v6, v2
	v_mul_f32_e32 v6, v5, v36
	v_add_u32_e32 v29, 0x1000, v19
	v_add_f32_e32 v3, v7, v8
	v_fma_f32 v34, v4, v35, -v6
	ds_read_b128 v[6:9], v17 offset:128
	ds_read2_b64 v[30:33], v29 offset1:32
	v_mul_f32_e32 v4, v4, v36
	v_fmac_f32_e32 v4, v5, v35
	v_add_f32_e32 v3, v3, v34
	ds_read_b128 v[34:37], v17 offset:144
	ds_read2_b64 v[38:41], v29 offset0:64 offset1:96
	s_waitcnt lgkmcnt(2)
	v_mul_f32_e32 v5, v30, v7
	v_add_f32_e32 v2, v2, v4
	v_mul_f32_e32 v4, v31, v7
	v_fmac_f32_e32 v5, v31, v6
	v_fma_f32 v4, v30, v6, -v4
	v_add_f32_e32 v2, v2, v5
	v_mul_f32_e32 v5, v32, v9
	v_add_f32_e32 v3, v3, v4
	v_mul_f32_e32 v4, v33, v9
	v_fmac_f32_e32 v5, v33, v8
	v_fma_f32 v4, v32, v8, -v4
	v_add_f32_e32 v2, v2, v5
	s_waitcnt lgkmcnt(0)
	v_mul_f32_e32 v5, v38, v35
	v_add_f32_e32 v3, v3, v4
	v_mul_f32_e32 v4, v39, v35
	v_fmac_f32_e32 v5, v39, v34
	v_fma_f32 v4, v38, v34, -v4
	v_add_f32_e32 v31, v2, v5
	v_mul_f32_e32 v2, v41, v37
	v_add_f32_e32 v30, v3, v4
	v_fma_f32 v32, v40, v36, -v2
	ds_read_b128 v[2:5], v17 offset:160
	ds_read2_b64 v[6:9], v29 offset0:128 offset1:160
	global_load_dwordx2 v[38:39], v[11:12], off
	v_mul_f32_e32 v33, v40, v37
	v_fmac_f32_e32 v33, v41, v36
	v_add_f32_e32 v34, v30, v32
	s_waitcnt lgkmcnt(0)
	v_mul_f32_e32 v36, v7, v3
	v_mul_f32_e32 v3, v6, v3
	v_add_f32_e32 v35, v31, v33
	v_fma_f32 v36, v6, v2, -v36
	v_fmac_f32_e32 v3, v7, v2
	ds_read_b128 v[30:33], v17 offset:176
	v_add_f32_e32 v2, v34, v36
	v_add_f32_e32 v3, v35, v3
	ds_read2_b64 v[34:37], v29 offset0:192 offset1:224
	v_mul_f32_e32 v6, v9, v5
	v_mul_f32_e32 v5, v8, v5
	v_fma_f32 v6, v8, v4, -v6
	v_fmac_f32_e32 v5, v9, v4
	s_waitcnt lgkmcnt(0)
	v_mul_f32_e32 v4, v35, v31
	v_add_f32_e32 v2, v2, v6
	v_add_f32_e32 v3, v3, v5
	v_fma_f32 v4, v34, v30, -v4
	v_mul_f32_e32 v5, v34, v31
	v_fmac_f32_e32 v5, v35, v30
	v_add_f32_e32 v29, v2, v4
	v_mul_f32_e32 v2, v37, v33
	v_add_u32_e32 v40, 0x1800, v19
	v_add_f32_e32 v30, v3, v5
	v_fma_f32 v31, v36, v32, -v2
	ds_read_b128 v[2:5], v17 offset:192
	ds_read2_b64 v[6:9], v40 offset1:32
	v_mul_f32_e32 v33, v36, v33
	v_fmac_f32_e32 v33, v37, v32
	v_add_f32_e32 v34, v29, v31
	v_add_f32_e32 v33, v30, v33
	ds_read_b128 v[29:32], v17 offset:208
	s_waitcnt lgkmcnt(1)
	v_mul_f32_e32 v35, v7, v3
	v_mul_f32_e32 v3, v6, v3
	v_fma_f32 v35, v6, v2, -v35
	v_fmac_f32_e32 v3, v7, v2
	v_add_f32_e32 v2, v34, v35
	v_add_f32_e32 v3, v33, v3
	ds_read2_b64 v[33:36], v40 offset0:64 offset1:96
	v_mul_f32_e32 v6, v9, v5
	v_mul_f32_e32 v5, v8, v5
	v_fma_f32 v6, v8, v4, -v6
	v_fmac_f32_e32 v5, v9, v4
	s_waitcnt lgkmcnt(0)
	v_mul_f32_e32 v4, v34, v30
	v_add_f32_e32 v2, v2, v6
	v_add_f32_e32 v3, v3, v5
	v_fma_f32 v4, v33, v29, -v4
	v_mul_f32_e32 v5, v33, v30
	v_fmac_f32_e32 v5, v34, v29
	v_add_f32_e32 v29, v2, v4
	v_mul_f32_e32 v2, v36, v32
	v_add_f32_e32 v30, v3, v5
	v_fma_f32 v33, v35, v31, -v2
	ds_read_b128 v[2:5], v17 offset:224
	ds_read2_b64 v[6:9], v40 offset0:128 offset1:160
	v_mul_f32_e32 v32, v35, v32
	v_fmac_f32_e32 v32, v36, v31
	v_add_f32_e32 v33, v29, v33
	v_add_f32_e32 v34, v30, v32
	s_waitcnt lgkmcnt(0)
	v_mul_f32_e32 v35, v7, v3
	v_mul_f32_e32 v3, v6, v3
	v_fma_f32 v35, v6, v2, -v35
	v_fmac_f32_e32 v3, v7, v2
	ds_read_b128 v[29:32], v17 offset:240
	v_add_f32_e32 v2, v33, v35
	v_add_f32_e32 v3, v34, v3
	ds_read2_b64 v[33:36], v40 offset0:192 offset1:224
	v_mul_f32_e32 v6, v9, v5
	v_mul_f32_e32 v5, v8, v5
	v_fmac_f32_e32 v5, v9, v4
	v_fma_f32 v6, v8, v4, -v6
	v_add_f32_e32 v3, v3, v5
	s_waitcnt lgkmcnt(0)
	v_mul_f32_e32 v4, v34, v30
	v_mul_f32_e32 v5, v33, v30
	v_add_f32_e32 v2, v2, v6
	v_fma_f32 v4, v33, v29, -v4
	v_fmac_f32_e32 v5, v34, v29
	v_add_f32_e32 v2, v2, v4
	v_add_f32_e32 v3, v3, v5
	v_mul_f32_e32 v4, v36, v32
	v_mul_f32_e32 v5, v35, v32
	v_fma_f32 v4, v35, v31, -v4
	v_fmac_f32_e32 v5, v36, v31
	v_add_f32_e32 v2, v2, v4
	v_add_f32_e32 v3, v3, v5
	v_mul_f32_e32 v4, s33, v3
	v_mul_f32_e32 v5, s33, v2
	v_fma_f32 v4, s31, v2, -v4
	v_fmac_f32_e32 v5, s31, v3
	s_waitcnt vmcnt(0)
	v_add_f32_e32 v2, v38, v4
	v_add_f32_e32 v3, v39, v5
	global_store_dwordx2 v[11:12], v[2:3], off
	s_branch .LBB27_6
.LBB27_21:
	s_endpgm
	.section	.rodata,"a",@progbits
	.p2align	6, 0x0
	.amdhsa_kernel _ZL24rocblas_symm_hemm_kernelILb1ELb1ELi32E19rocblas_complex_numIfEPKS1_PS1_EvbiiT2_T3_lllS6_lllT4_llli
		.amdhsa_group_segment_fixed_size 16384
		.amdhsa_private_segment_fixed_size 0
		.amdhsa_kernarg_size 384
		.amdhsa_user_sgpr_count 6
		.amdhsa_user_sgpr_private_segment_buffer 1
		.amdhsa_user_sgpr_dispatch_ptr 0
		.amdhsa_user_sgpr_queue_ptr 0
		.amdhsa_user_sgpr_kernarg_segment_ptr 1
		.amdhsa_user_sgpr_dispatch_id 0
		.amdhsa_user_sgpr_flat_scratch_init 0
		.amdhsa_user_sgpr_private_segment_size 0
		.amdhsa_uses_dynamic_stack 0
		.amdhsa_system_sgpr_private_segment_wavefront_offset 0
		.amdhsa_system_sgpr_workgroup_id_x 1
		.amdhsa_system_sgpr_workgroup_id_y 1
		.amdhsa_system_sgpr_workgroup_id_z 1
		.amdhsa_system_sgpr_workgroup_info 0
		.amdhsa_system_vgpr_workitem_id 1
		.amdhsa_next_free_vgpr 42
		.amdhsa_next_free_sgpr 61
		.amdhsa_reserve_vcc 1
		.amdhsa_reserve_flat_scratch 0
		.amdhsa_float_round_mode_32 0
		.amdhsa_float_round_mode_16_64 0
		.amdhsa_float_denorm_mode_32 3
		.amdhsa_float_denorm_mode_16_64 3
		.amdhsa_dx10_clamp 1
		.amdhsa_ieee_mode 1
		.amdhsa_fp16_overflow 0
		.amdhsa_exception_fp_ieee_invalid_op 0
		.amdhsa_exception_fp_denorm_src 0
		.amdhsa_exception_fp_ieee_div_zero 0
		.amdhsa_exception_fp_ieee_overflow 0
		.amdhsa_exception_fp_ieee_underflow 0
		.amdhsa_exception_fp_ieee_inexact 0
		.amdhsa_exception_int_div_zero 0
	.end_amdhsa_kernel
	.section	.text._ZL24rocblas_symm_hemm_kernelILb1ELb1ELi32E19rocblas_complex_numIfEPKS1_PS1_EvbiiT2_T3_lllS6_lllT4_llli,"axG",@progbits,_ZL24rocblas_symm_hemm_kernelILb1ELb1ELi32E19rocblas_complex_numIfEPKS1_PS1_EvbiiT2_T3_lllS6_lllT4_llli,comdat
.Lfunc_end27:
	.size	_ZL24rocblas_symm_hemm_kernelILb1ELb1ELi32E19rocblas_complex_numIfEPKS1_PS1_EvbiiT2_T3_lllS6_lllT4_llli, .Lfunc_end27-_ZL24rocblas_symm_hemm_kernelILb1ELb1ELi32E19rocblas_complex_numIfEPKS1_PS1_EvbiiT2_T3_lllS6_lllT4_llli
                                        ; -- End function
	.set _ZL24rocblas_symm_hemm_kernelILb1ELb1ELi32E19rocblas_complex_numIfEPKS1_PS1_EvbiiT2_T3_lllS6_lllT4_llli.num_vgpr, 42
	.set _ZL24rocblas_symm_hemm_kernelILb1ELb1ELi32E19rocblas_complex_numIfEPKS1_PS1_EvbiiT2_T3_lllS6_lllT4_llli.num_agpr, 0
	.set _ZL24rocblas_symm_hemm_kernelILb1ELb1ELi32E19rocblas_complex_numIfEPKS1_PS1_EvbiiT2_T3_lllS6_lllT4_llli.numbered_sgpr, 44
	.set _ZL24rocblas_symm_hemm_kernelILb1ELb1ELi32E19rocblas_complex_numIfEPKS1_PS1_EvbiiT2_T3_lllS6_lllT4_llli.num_named_barrier, 0
	.set _ZL24rocblas_symm_hemm_kernelILb1ELb1ELi32E19rocblas_complex_numIfEPKS1_PS1_EvbiiT2_T3_lllS6_lllT4_llli.private_seg_size, 0
	.set _ZL24rocblas_symm_hemm_kernelILb1ELb1ELi32E19rocblas_complex_numIfEPKS1_PS1_EvbiiT2_T3_lllS6_lllT4_llli.uses_vcc, 1
	.set _ZL24rocblas_symm_hemm_kernelILb1ELb1ELi32E19rocblas_complex_numIfEPKS1_PS1_EvbiiT2_T3_lllS6_lllT4_llli.uses_flat_scratch, 0
	.set _ZL24rocblas_symm_hemm_kernelILb1ELb1ELi32E19rocblas_complex_numIfEPKS1_PS1_EvbiiT2_T3_lllS6_lllT4_llli.has_dyn_sized_stack, 0
	.set _ZL24rocblas_symm_hemm_kernelILb1ELb1ELi32E19rocblas_complex_numIfEPKS1_PS1_EvbiiT2_T3_lllS6_lllT4_llli.has_recursion, 0
	.set _ZL24rocblas_symm_hemm_kernelILb1ELb1ELi32E19rocblas_complex_numIfEPKS1_PS1_EvbiiT2_T3_lllS6_lllT4_llli.has_indirect_call, 0
	.section	.AMDGPU.csdata,"",@progbits
; Kernel info:
; codeLenInByte = 2244
; TotalNumSgprs: 48
; NumVgprs: 42
; ScratchSize: 0
; MemoryBound: 0
; FloatMode: 240
; IeeeMode: 1
; LDSByteSize: 16384 bytes/workgroup (compile time only)
; SGPRBlocks: 8
; VGPRBlocks: 10
; NumSGPRsForWavesPerEU: 65
; NumVGPRsForWavesPerEU: 42
; Occupancy: 5
; WaveLimiterHint : 0
; COMPUTE_PGM_RSRC2:SCRATCH_EN: 0
; COMPUTE_PGM_RSRC2:USER_SGPR: 6
; COMPUTE_PGM_RSRC2:TRAP_HANDLER: 0
; COMPUTE_PGM_RSRC2:TGID_X_EN: 1
; COMPUTE_PGM_RSRC2:TGID_Y_EN: 1
; COMPUTE_PGM_RSRC2:TGID_Z_EN: 1
; COMPUTE_PGM_RSRC2:TIDIG_COMP_CNT: 1
	.section	.text._ZL24rocblas_symm_hemm_kernelILb1ELb0ELi32EPK19rocblas_complex_numIdES3_PS1_EvbiiT2_T3_lllS6_lllT4_llli,"axG",@progbits,_ZL24rocblas_symm_hemm_kernelILb1ELb0ELi32EPK19rocblas_complex_numIdES3_PS1_EvbiiT2_T3_lllS6_lllT4_llli,comdat
	.globl	_ZL24rocblas_symm_hemm_kernelILb1ELb0ELi32EPK19rocblas_complex_numIdES3_PS1_EvbiiT2_T3_lllS6_lllT4_llli ; -- Begin function _ZL24rocblas_symm_hemm_kernelILb1ELb0ELi32EPK19rocblas_complex_numIdES3_PS1_EvbiiT2_T3_lllS6_lllT4_llli
	.p2align	8
	.type	_ZL24rocblas_symm_hemm_kernelILb1ELb0ELi32EPK19rocblas_complex_numIdES3_PS1_EvbiiT2_T3_lllS6_lllT4_llli,@function
_ZL24rocblas_symm_hemm_kernelILb1ELb0ELi32EPK19rocblas_complex_numIdES3_PS1_EvbiiT2_T3_lllS6_lllT4_llli: ; @_ZL24rocblas_symm_hemm_kernelILb1ELb0ELi32EPK19rocblas_complex_numIdES3_PS1_EvbiiT2_T3_lllS6_lllT4_llli
; %bb.0:
	s_load_dwordx16 s[12:27], s[4:5], 0x10
	s_waitcnt lgkmcnt(0)
	s_load_dwordx4 s[28:31], s[12:13], 0x0
	s_waitcnt lgkmcnt(0)
	v_cmp_eq_f64_e64 s[0:1], s[28:29], 0
	v_cmp_eq_f64_e64 s[2:3], s[30:31], 0
	s_and_b64 s[0:1], s[0:1], s[2:3]
	s_and_b64 vcc, exec, s[0:1]
	s_cbranch_vccnz .LBB28_21
; %bb.1:
	s_load_dwordx4 s[44:47], s[4:5], 0x0
	s_waitcnt lgkmcnt(0)
	s_add_i32 s0, s46, -1
	s_ashr_i32 s1, s0, 31
	s_lshr_b32 s1, s1, 27
	s_add_i32 s0, s0, s1
	s_ashr_i32 s33, s0, 5
	s_cmp_gt_i32 s7, s33
	s_cbranch_scc1 .LBB28_21
; %bb.2:
	s_load_dwordx8 s[36:43], s[4:5], 0x50
	s_load_dwordx2 s[2:3], s[4:5], 0x70
	v_lshl_add_u32 v8, s6, 5, v0
	v_ashrrev_i32_e32 v9, 31, v8
	v_lshlrev_b64 v[2:3], 4, v[8:9]
	s_waitcnt lgkmcnt(0)
	s_mul_i32 s1, s37, s8
	s_mul_hi_u32 s9, s36, s8
	s_mul_i32 s0, s36, s8
	s_add_i32 s1, s9, s1
	s_lshl_b64 s[0:1], s[0:1], 4
	s_add_u32 s9, s22, s0
	s_addc_u32 s10, s23, s1
	s_lshl_b64 s[0:1], s[24:25], 4
	s_add_u32 s22, s9, s0
	s_addc_u32 s23, s10, s1
	s_bitcmp1_b32 s44, 0
	s_load_dword s24, s[4:5], 0x84
	s_mul_i32 s3, s3, s8
	s_mul_hi_u32 s4, s2, s8
	s_cselect_b64 s[0:1], -1, 0
	s_add_i32 s3, s4, s3
	s_mul_i32 s2, s2, s8
	s_lshl_b64 s[2:3], s[2:3], 4
	s_add_u32 s4, s38, s2
	s_addc_u32 s5, s39, s3
	s_lshl_b64 s[2:3], s[40:41], 4
	s_add_u32 s4, s4, s2
	s_addc_u32 s5, s5, s3
	s_mul_i32 s2, s21, s8
	s_mul_hi_u32 s3, s20, s8
	s_add_i32 s3, s3, s2
	s_mul_i32 s2, s20, s8
	s_lshl_b64 s[2:3], s[2:3], 4
	s_add_u32 s8, s14, s2
	s_addc_u32 s9, s15, s3
	s_lshl_b64 s[2:3], s[16:17], 4
	s_add_u32 s8, s8, s2
	s_addc_u32 s9, s9, s3
	v_mul_lo_u32 v7, s18, v9
	v_mul_lo_u32 v9, s19, v8
	v_mad_u64_u32 v[4:5], s[2:3], s18, v8, 0
	v_mov_b32_e32 v6, s9
	v_add_co_u32_e32 v15, vcc, s8, v2
	v_add3_u32 v5, v5, v7, v9
	v_lshlrev_b64 v[4:5], 4, v[4:5]
	v_addc_co_u32_e32 v16, vcc, v6, v3, vcc
	v_add_co_u32_e32 v17, vcc, s8, v4
	v_addc_co_u32_e32 v18, vcc, v6, v5, vcc
	v_lshlrev_b32_e32 v19, 9, v0
	v_lshlrev_b32_e32 v6, 4, v1
	s_cmp_gt_i32 s45, 0
	v_add_u32_e32 v20, v19, v6
	v_or_b32_e32 v21, 0x4000, v6
	v_mov_b32_e32 v6, s5
	v_add_co_u32_e32 v23, vcc, s4, v2
	v_addc_co_u32_e32 v24, vcc, v6, v3, vcc
	s_cselect_b64 s[4:5], -1, 0
	v_add_co_u32_e32 v9, vcc, v15, v4
	v_cndmask_b32_e64 v2, 0, 1, s[4:5]
	v_add_u32_e32 v22, v21, v19
	v_cmp_gt_i32_e64 s[2:3], s45, v8
	v_addc_co_u32_e32 v10, vcc, v16, v5, vcc
	v_cmp_ne_u32_e64 s[4:5], 1, v2
	s_branch .LBB28_4
.LBB28_3:                               ;   in Loop: Header=BB28_4 Depth=1
	s_waitcnt lgkmcnt(0)
	s_add_i32 s7, s7, s24
	s_cmp_gt_i32 s7, s33
	s_cbranch_scc1 .LBB28_21
.LBB28_4:                               ; =>This Loop Header: Depth=1
                                        ;     Child Loop BB28_7 Depth 2
	s_and_b64 vcc, exec, s[4:5]
	s_cbranch_vccnz .LBB28_3
; %bb.5:                                ;   in Loop: Header=BB28_4 Depth=1
	v_lshl_add_u32 v4, s7, 5, v1
	v_ashrrev_i32_e32 v5, 31, v4
	v_mul_lo_u32 v6, s26, v5
	v_mul_lo_u32 v7, s27, v4
	v_mad_u64_u32 v[2:3], s[8:9], s26, v4, 0
	v_cmp_gt_i32_e32 vcc, s46, v4
	v_mul_lo_u32 v11, s43, v4
	v_add3_u32 v3, v3, v6, v7
	v_mul_lo_u32 v7, s42, v5
	v_mad_u64_u32 v[4:5], s[8:9], s42, v4, 0
	v_lshlrev_b64 v[2:3], 4, v[2:3]
	v_mov_b32_e32 v6, s23
	v_add_co_u32_e64 v25, s[8:9], s22, v2
	v_add3_u32 v5, v5, v7, v11
	v_addc_co_u32_e64 v26, s[8:9], v6, v3, s[8:9]
	v_lshlrev_b64 v[2:3], 4, v[4:5]
	s_and_b64 s[12:13], s[2:3], vcc
	v_add_co_u32_e64 v11, s[8:9], v23, v2
	v_addc_co_u32_e64 v12, s[8:9], v24, v3, s[8:9]
	s_mov_b32 s6, 0
	s_branch .LBB28_7
.LBB28_6:                               ;   in Loop: Header=BB28_7 Depth=2
	s_or_b64 exec, exec, s[8:9]
	s_add_i32 s6, s6, 32
	s_cmp_ge_i32 s6, s45
	s_waitcnt vmcnt(0)
	s_barrier
	s_cbranch_scc1 .LBB28_3
.LBB28_7:                               ;   Parent Loop BB28_4 Depth=1
                                        ; =>  This Inner Loop Header: Depth=2
	v_add_u32_e32 v13, s6, v1
	v_cndmask_b32_e64 v2, v13, v8, s[0:1]
	v_cndmask_b32_e64 v3, v8, v13, s[0:1]
	v_cmp_gt_i32_e64 s[10:11], v2, v3
	v_cmp_le_i32_e64 s[8:9], v2, v3
	v_cndmask_b32_e64 v2, v8, v13, s[10:11]
	v_cndmask_b32_e64 v3, v13, v8, s[10:11]
	v_max_i32_e32 v14, v2, v3
	v_mov_b32_e32 v2, 0
	v_mov_b32_e32 v4, 0
	;; [unrolled: 1-line block ×6, first 2 shown]
	v_cmp_gt_i32_e64 s[10:11], s45, v14
	s_and_saveexec_b64 s[14:15], s[10:11]
	s_cbranch_execz .LBB28_17
; %bb.8:                                ;   in Loop: Header=BB28_7 Depth=2
                                        ; implicit-def: $vgpr6_vgpr7
	s_and_saveexec_b64 s[10:11], s[8:9]
	s_xor_b64 s[10:11], exec, s[10:11]
	s_cbranch_execz .LBB28_14
; %bb.9:                                ;   in Loop: Header=BB28_7 Depth=2
	v_cmp_ne_u32_e64 s[8:9], v13, v8
                                        ; implicit-def: $vgpr6_vgpr7
	s_and_saveexec_b64 s[16:17], s[8:9]
	s_xor_b64 s[16:17], exec, s[16:17]
	s_cbranch_execz .LBB28_11
; %bb.10:                               ;   in Loop: Header=BB28_7 Depth=2
	v_ashrrev_i32_e32 v6, 31, v13
	v_mul_lo_u32 v7, s19, v13
	v_mad_u64_u32 v[4:5], s[8:9], s18, v13, 0
	v_mul_lo_u32 v6, s18, v6
	v_add3_u32 v5, v5, v6, v7
	v_lshlrev_b64 v[4:5], 4, v[4:5]
	v_add_co_u32_e64 v4, s[8:9], v15, v4
	v_addc_co_u32_e64 v5, s[8:9], v16, v5, s[8:9]
	global_load_dwordx4 v[4:7], v[4:5], off
.LBB28_11:                              ;   in Loop: Header=BB28_7 Depth=2
	s_andn2_saveexec_b64 s[8:9], s[16:17]
	s_cbranch_execz .LBB28_13
; %bb.12:                               ;   in Loop: Header=BB28_7 Depth=2
	global_load_dwordx2 v[4:5], v[9:10], off
	s_waitcnt vmcnt(1)
	v_mov_b32_e32 v6, 0
	v_mov_b32_e32 v7, 0
.LBB28_13:                              ;   in Loop: Header=BB28_7 Depth=2
	s_or_b64 exec, exec, s[8:9]
                                        ; implicit-def: $vgpr13
.LBB28_14:                              ;   in Loop: Header=BB28_7 Depth=2
	s_andn2_saveexec_b64 s[10:11], s[10:11]
	s_cbranch_execz .LBB28_16
; %bb.15:                               ;   in Loop: Header=BB28_7 Depth=2
	v_ashrrev_i32_e32 v14, 31, v13
	s_waitcnt vmcnt(0)
	v_lshlrev_b64 v[4:5], 4, v[13:14]
	v_add_co_u32_e64 v4, s[8:9], v17, v4
	v_addc_co_u32_e64 v5, s[8:9], v18, v5, s[8:9]
	global_load_dwordx4 v[4:7], v[4:5], off
	s_waitcnt vmcnt(0)
	v_xor_b32_e32 v7, 0x80000000, v7
.LBB28_16:                              ;   in Loop: Header=BB28_7 Depth=2
	s_or_b64 exec, exec, s[10:11]
.LBB28_17:                              ;   in Loop: Header=BB28_7 Depth=2
	s_or_b64 exec, exec, s[14:15]
	s_waitcnt vmcnt(0)
	ds_write_b128 v20, v[4:7]
	v_add_u32_e32 v6, s6, v0
	v_cmp_gt_i32_e64 s[8:9], s45, v6
	v_mov_b32_e32 v4, 0
	v_mov_b32_e32 v5, 0
	s_and_b64 s[8:9], s[8:9], vcc
	s_and_saveexec_b64 s[10:11], s[8:9]
	s_cbranch_execz .LBB28_19
; %bb.18:                               ;   in Loop: Header=BB28_7 Depth=2
	v_ashrrev_i32_e32 v7, 31, v6
	v_lshlrev_b64 v[2:3], 4, v[6:7]
	v_add_co_u32_e64 v2, s[8:9], v25, v2
	v_addc_co_u32_e64 v3, s[8:9], v26, v3, s[8:9]
	global_load_dwordx4 v[2:5], v[2:3], off
.LBB28_19:                              ;   in Loop: Header=BB28_7 Depth=2
	s_or_b64 exec, exec, s[10:11]
	s_waitcnt vmcnt(0)
	ds_write_b128 v22, v[2:5]
	s_waitcnt lgkmcnt(0)
	s_barrier
	s_and_saveexec_b64 s[8:9], s[12:13]
	s_cbranch_execz .LBB28_6
; %bb.20:                               ;   in Loop: Header=BB28_7 Depth=2
	ds_read_b128 v[27:30], v21
	ds_read_b128 v[31:34], v19
	ds_read_b128 v[35:38], v19 offset:16
	ds_read_b128 v[39:42], v19 offset:32
	;; [unrolled: 1-line block ×3, first 2 shown]
	s_waitcnt lgkmcnt(3)
	v_mul_f64 v[6:7], v[29:30], v[33:34]
	v_mul_f64 v[13:14], v[27:28], v[33:34]
	v_fma_f64 v[6:7], v[27:28], v[31:32], -v[6:7]
	v_fma_f64 v[13:14], v[29:30], v[31:32], v[13:14]
	ds_read_b128 v[27:30], v21 offset:512
	s_waitcnt lgkmcnt(0)
	v_mul_f64 v[31:32], v[29:30], v[37:38]
	v_add_f64 v[6:7], v[6:7], 0
	v_add_f64 v[13:14], v[13:14], 0
	v_fma_f64 v[31:32], v[27:28], v[35:36], -v[31:32]
	v_mul_f64 v[27:28], v[27:28], v[37:38]
	v_add_f64 v[6:7], v[6:7], v[31:32]
	v_fma_f64 v[27:28], v[29:30], v[35:36], v[27:28]
	v_add_f64 v[13:14], v[13:14], v[27:28]
	ds_read_b128 v[27:30], v21 offset:1024
	s_waitcnt lgkmcnt(0)
	v_mul_f64 v[31:32], v[29:30], v[41:42]
	v_fma_f64 v[31:32], v[27:28], v[39:40], -v[31:32]
	v_mul_f64 v[27:28], v[27:28], v[41:42]
	v_add_f64 v[6:7], v[6:7], v[31:32]
	v_fma_f64 v[27:28], v[29:30], v[39:40], v[27:28]
	v_add_f64 v[13:14], v[13:14], v[27:28]
	ds_read_b128 v[27:30], v21 offset:1536
	s_waitcnt lgkmcnt(0)
	v_mul_f64 v[31:32], v[29:30], v[4:5]
	v_mul_f64 v[4:5], v[27:28], v[4:5]
	v_fma_f64 v[31:32], v[27:28], v[2:3], -v[31:32]
	v_fma_f64 v[2:3], v[29:30], v[2:3], v[4:5]
	v_add_f64 v[6:7], v[6:7], v[31:32]
	v_add_f64 v[13:14], v[13:14], v[2:3]
	ds_read_b128 v[2:5], v21 offset:2048
	ds_read_b128 v[27:30], v19 offset:64
	s_waitcnt lgkmcnt(0)
	v_mul_f64 v[31:32], v[4:5], v[29:30]
	v_fma_f64 v[31:32], v[2:3], v[27:28], -v[31:32]
	v_mul_f64 v[2:3], v[2:3], v[29:30]
	v_add_f64 v[6:7], v[6:7], v[31:32]
	v_fma_f64 v[2:3], v[4:5], v[27:28], v[2:3]
	v_add_f64 v[13:14], v[13:14], v[2:3]
	ds_read_b128 v[2:5], v21 offset:2560
	ds_read_b128 v[27:30], v19 offset:80
	s_waitcnt lgkmcnt(0)
	v_mul_f64 v[31:32], v[4:5], v[29:30]
	v_fma_f64 v[31:32], v[2:3], v[27:28], -v[31:32]
	v_mul_f64 v[2:3], v[2:3], v[29:30]
	v_add_f64 v[6:7], v[6:7], v[31:32]
	v_fma_f64 v[2:3], v[4:5], v[27:28], v[2:3]
	;; [unrolled: 9-line block ×27, first 2 shown]
	v_add_f64 v[13:14], v[13:14], v[2:3]
	ds_read_b128 v[2:5], v21 offset:15872
	ds_read_b128 v[27:30], v19 offset:496
	s_waitcnt lgkmcnt(0)
	v_mul_f64 v[31:32], v[4:5], v[29:30]
	v_fma_f64 v[31:32], v[2:3], v[27:28], -v[31:32]
	v_mul_f64 v[2:3], v[2:3], v[29:30]
	v_fma_f64 v[2:3], v[4:5], v[27:28], v[2:3]
	global_load_dwordx4 v[27:30], v[11:12], off
	v_add_f64 v[4:5], v[6:7], v[31:32]
	v_add_f64 v[6:7], v[13:14], v[2:3]
	v_mul_f64 v[2:3], s[30:31], v[6:7]
	v_fma_f64 v[2:3], s[28:29], v[4:5], -v[2:3]
	v_mul_f64 v[4:5], s[30:31], v[4:5]
	v_fma_f64 v[4:5], s[28:29], v[6:7], v[4:5]
	s_waitcnt vmcnt(0)
	v_add_f64 v[2:3], v[27:28], v[2:3]
	v_add_f64 v[4:5], v[29:30], v[4:5]
	global_store_dwordx4 v[11:12], v[2:5], off
	s_branch .LBB28_6
.LBB28_21:
	s_endpgm
	.section	.rodata,"a",@progbits
	.p2align	6, 0x0
	.amdhsa_kernel _ZL24rocblas_symm_hemm_kernelILb1ELb0ELi32EPK19rocblas_complex_numIdES3_PS1_EvbiiT2_T3_lllS6_lllT4_llli
		.amdhsa_group_segment_fixed_size 32768
		.amdhsa_private_segment_fixed_size 0
		.amdhsa_kernarg_size 384
		.amdhsa_user_sgpr_count 6
		.amdhsa_user_sgpr_private_segment_buffer 1
		.amdhsa_user_sgpr_dispatch_ptr 0
		.amdhsa_user_sgpr_queue_ptr 0
		.amdhsa_user_sgpr_kernarg_segment_ptr 1
		.amdhsa_user_sgpr_dispatch_id 0
		.amdhsa_user_sgpr_flat_scratch_init 0
		.amdhsa_user_sgpr_private_segment_size 0
		.amdhsa_uses_dynamic_stack 0
		.amdhsa_system_sgpr_private_segment_wavefront_offset 0
		.amdhsa_system_sgpr_workgroup_id_x 1
		.amdhsa_system_sgpr_workgroup_id_y 1
		.amdhsa_system_sgpr_workgroup_id_z 1
		.amdhsa_system_sgpr_workgroup_info 0
		.amdhsa_system_vgpr_workitem_id 1
		.amdhsa_next_free_vgpr 43
		.amdhsa_next_free_sgpr 61
		.amdhsa_reserve_vcc 1
		.amdhsa_reserve_flat_scratch 0
		.amdhsa_float_round_mode_32 0
		.amdhsa_float_round_mode_16_64 0
		.amdhsa_float_denorm_mode_32 3
		.amdhsa_float_denorm_mode_16_64 3
		.amdhsa_dx10_clamp 1
		.amdhsa_ieee_mode 1
		.amdhsa_fp16_overflow 0
		.amdhsa_exception_fp_ieee_invalid_op 0
		.amdhsa_exception_fp_denorm_src 0
		.amdhsa_exception_fp_ieee_div_zero 0
		.amdhsa_exception_fp_ieee_overflow 0
		.amdhsa_exception_fp_ieee_underflow 0
		.amdhsa_exception_fp_ieee_inexact 0
		.amdhsa_exception_int_div_zero 0
	.end_amdhsa_kernel
	.section	.text._ZL24rocblas_symm_hemm_kernelILb1ELb0ELi32EPK19rocblas_complex_numIdES3_PS1_EvbiiT2_T3_lllS6_lllT4_llli,"axG",@progbits,_ZL24rocblas_symm_hemm_kernelILb1ELb0ELi32EPK19rocblas_complex_numIdES3_PS1_EvbiiT2_T3_lllS6_lllT4_llli,comdat
.Lfunc_end28:
	.size	_ZL24rocblas_symm_hemm_kernelILb1ELb0ELi32EPK19rocblas_complex_numIdES3_PS1_EvbiiT2_T3_lllS6_lllT4_llli, .Lfunc_end28-_ZL24rocblas_symm_hemm_kernelILb1ELb0ELi32EPK19rocblas_complex_numIdES3_PS1_EvbiiT2_T3_lllS6_lllT4_llli
                                        ; -- End function
	.set _ZL24rocblas_symm_hemm_kernelILb1ELb0ELi32EPK19rocblas_complex_numIdES3_PS1_EvbiiT2_T3_lllS6_lllT4_llli.num_vgpr, 43
	.set _ZL24rocblas_symm_hemm_kernelILb1ELb0ELi32EPK19rocblas_complex_numIdES3_PS1_EvbiiT2_T3_lllS6_lllT4_llli.num_agpr, 0
	.set _ZL24rocblas_symm_hemm_kernelILb1ELb0ELi32EPK19rocblas_complex_numIdES3_PS1_EvbiiT2_T3_lllS6_lllT4_llli.numbered_sgpr, 48
	.set _ZL24rocblas_symm_hemm_kernelILb1ELb0ELi32EPK19rocblas_complex_numIdES3_PS1_EvbiiT2_T3_lllS6_lllT4_llli.num_named_barrier, 0
	.set _ZL24rocblas_symm_hemm_kernelILb1ELb0ELi32EPK19rocblas_complex_numIdES3_PS1_EvbiiT2_T3_lllS6_lllT4_llli.private_seg_size, 0
	.set _ZL24rocblas_symm_hemm_kernelILb1ELb0ELi32EPK19rocblas_complex_numIdES3_PS1_EvbiiT2_T3_lllS6_lllT4_llli.uses_vcc, 1
	.set _ZL24rocblas_symm_hemm_kernelILb1ELb0ELi32EPK19rocblas_complex_numIdES3_PS1_EvbiiT2_T3_lllS6_lllT4_llli.uses_flat_scratch, 0
	.set _ZL24rocblas_symm_hemm_kernelILb1ELb0ELi32EPK19rocblas_complex_numIdES3_PS1_EvbiiT2_T3_lllS6_lllT4_llli.has_dyn_sized_stack, 0
	.set _ZL24rocblas_symm_hemm_kernelILb1ELb0ELi32EPK19rocblas_complex_numIdES3_PS1_EvbiiT2_T3_lllS6_lllT4_llli.has_recursion, 0
	.set _ZL24rocblas_symm_hemm_kernelILb1ELb0ELi32EPK19rocblas_complex_numIdES3_PS1_EvbiiT2_T3_lllS6_lllT4_llli.has_indirect_call, 0
	.section	.AMDGPU.csdata,"",@progbits
; Kernel info:
; codeLenInByte = 3260
; TotalNumSgprs: 52
; NumVgprs: 43
; ScratchSize: 0
; MemoryBound: 1
; FloatMode: 240
; IeeeMode: 1
; LDSByteSize: 32768 bytes/workgroup (compile time only)
; SGPRBlocks: 8
; VGPRBlocks: 10
; NumSGPRsForWavesPerEU: 65
; NumVGPRsForWavesPerEU: 43
; Occupancy: 5
; WaveLimiterHint : 0
; COMPUTE_PGM_RSRC2:SCRATCH_EN: 0
; COMPUTE_PGM_RSRC2:USER_SGPR: 6
; COMPUTE_PGM_RSRC2:TRAP_HANDLER: 0
; COMPUTE_PGM_RSRC2:TGID_X_EN: 1
; COMPUTE_PGM_RSRC2:TGID_Y_EN: 1
; COMPUTE_PGM_RSRC2:TGID_Z_EN: 1
; COMPUTE_PGM_RSRC2:TIDIG_COMP_CNT: 1
	.section	.text._ZL24rocblas_symm_hemm_kernelILb1ELb1ELi32EPK19rocblas_complex_numIdES3_PS1_EvbiiT2_T3_lllS6_lllT4_llli,"axG",@progbits,_ZL24rocblas_symm_hemm_kernelILb1ELb1ELi32EPK19rocblas_complex_numIdES3_PS1_EvbiiT2_T3_lllS6_lllT4_llli,comdat
	.globl	_ZL24rocblas_symm_hemm_kernelILb1ELb1ELi32EPK19rocblas_complex_numIdES3_PS1_EvbiiT2_T3_lllS6_lllT4_llli ; -- Begin function _ZL24rocblas_symm_hemm_kernelILb1ELb1ELi32EPK19rocblas_complex_numIdES3_PS1_EvbiiT2_T3_lllS6_lllT4_llli
	.p2align	8
	.type	_ZL24rocblas_symm_hemm_kernelILb1ELb1ELi32EPK19rocblas_complex_numIdES3_PS1_EvbiiT2_T3_lllS6_lllT4_llli,@function
_ZL24rocblas_symm_hemm_kernelILb1ELb1ELi32EPK19rocblas_complex_numIdES3_PS1_EvbiiT2_T3_lllS6_lllT4_llli: ; @_ZL24rocblas_symm_hemm_kernelILb1ELb1ELi32EPK19rocblas_complex_numIdES3_PS1_EvbiiT2_T3_lllS6_lllT4_llli
; %bb.0:
	s_load_dwordx16 s[12:27], s[4:5], 0x10
	s_waitcnt lgkmcnt(0)
	s_load_dwordx4 s[28:31], s[12:13], 0x0
	s_waitcnt lgkmcnt(0)
	v_cmp_eq_f64_e64 s[0:1], s[28:29], 0
	v_cmp_eq_f64_e64 s[2:3], s[30:31], 0
	s_and_b64 s[0:1], s[0:1], s[2:3]
	s_and_b64 vcc, exec, s[0:1]
	s_cbranch_vccnz .LBB29_21
; %bb.1:
	s_load_dwordx4 s[44:47], s[4:5], 0x0
	s_waitcnt lgkmcnt(0)
	s_add_i32 s0, s46, -1
	s_ashr_i32 s1, s0, 31
	s_lshr_b32 s1, s1, 27
	s_add_i32 s0, s0, s1
	s_ashr_i32 s33, s0, 5
	s_cmp_gt_i32 s7, s33
	s_cbranch_scc1 .LBB29_21
; %bb.2:
	s_mul_i32 s0, s21, s8
	s_mul_hi_u32 s1, s20, s8
	s_add_i32 s1, s1, s0
	s_mul_i32 s0, s20, s8
	s_lshl_b64 s[0:1], s[0:1], 4
	s_add_u32 s2, s14, s0
	s_addc_u32 s3, s15, s1
	s_lshl_b64 s[0:1], s[16:17], 4
	s_add_u32 s16, s2, s0
	s_addc_u32 s17, s3, s1
	s_load_dwordx2 s[2:3], s[4:5], 0x70
	s_load_dwordx8 s[36:43], s[4:5], 0x50
	s_load_dword s20, s[4:5], 0x84
	s_bitcmp1_b32 s44, 0
	s_cselect_b64 s[0:1], -1, 0
	v_lshl_add_u32 v2, s6, 5, v0
	s_waitcnt lgkmcnt(0)
	s_mul_i32 s3, s3, s8
	s_mul_hi_u32 s4, s2, s8
	s_add_i32 s3, s4, s3
	s_mul_i32 s2, s2, s8
	s_lshl_b64 s[2:3], s[2:3], 4
	s_add_u32 s4, s38, s2
	s_addc_u32 s5, s39, s3
	s_lshl_b64 s[2:3], s[40:41], 4
	s_add_u32 s9, s4, s2
	s_addc_u32 s10, s5, s3
	s_mul_i32 s2, s37, s8
	s_mul_hi_u32 s3, s36, s8
	s_add_i32 s3, s3, s2
	s_mul_i32 s2, s36, s8
	s_lshl_b64 s[2:3], s[2:3], 4
	s_add_u32 s4, s22, s2
	s_addc_u32 s5, s23, s3
	s_lshl_b64 s[2:3], s[24:25], 4
	s_add_u32 s8, s4, s2
	v_ashrrev_i32_e32 v3, 31, v2
	s_addc_u32 s11, s5, s3
	v_cmp_gt_i32_e64 s[2:3], s45, v2
	v_lshlrev_b64 v[2:3], 4, v[2:3]
	v_mov_b32_e32 v4, s11
	v_add_co_u32_e32 v13, vcc, s8, v2
	s_cmp_gt_i32 s46, 0
	v_addc_co_u32_e32 v14, vcc, v4, v3, vcc
	s_cselect_b64 s[4:5], -1, 0
	v_lshlrev_b32_e32 v15, 9, v0
	v_lshlrev_b32_e32 v4, 4, v1
	v_add_co_u32_e32 v19, vcc, s9, v2
	v_lshl_add_u32 v2, s7, 5, v1
	v_add_u32_e32 v16, v15, v4
	v_or_b32_e32 v17, 0x4000, v4
	v_mov_b32_e32 v4, s10
	v_sub_u32_e32 v21, 0, v2
	v_cndmask_b32_e64 v2, 0, 1, s[4:5]
	v_add_u32_e32 v18, v17, v15
	v_addc_co_u32_e32 v20, vcc, v4, v3, vcc
	s_lshl_b32 s6, s20, 5
	v_cmp_ne_u32_e64 s[4:5], 1, v2
	s_branch .LBB29_4
.LBB29_3:                               ;   in Loop: Header=BB29_4 Depth=1
	s_add_i32 s7, s7, s20
	s_cmp_gt_i32 s7, s33
	v_subrev_u32_e32 v21, s6, v21
	s_cbranch_scc1 .LBB29_21
.LBB29_4:                               ; =>This Loop Header: Depth=1
                                        ;     Child Loop BB29_7 Depth 2
	s_and_b64 vcc, exec, s[4:5]
	s_cbranch_vccnz .LBB29_3
; %bb.5:                                ;   in Loop: Header=BB29_4 Depth=1
	v_lshl_add_u32 v8, s7, 5, v1
	v_ashrrev_i32_e32 v9, 31, v8
	v_mul_lo_u32 v4, s19, v8
	v_mad_u64_u32 v[2:3], s[8:9], s18, v8, 0
	v_mul_lo_u32 v5, s18, v9
	v_mul_lo_u32 v7, s42, v9
	v_mov_b32_e32 v6, s17
	v_add_u32_e32 v26, v0, v21
	v_add3_u32 v3, v3, v5, v4
	v_lshlrev_b64 v[2:3], 4, v[2:3]
	v_mov_b32_e32 v4, s17
	v_add_co_u32_e32 v22, vcc, s16, v2
	v_addc_co_u32_e32 v23, vcc, v4, v3, vcc
	v_lshlrev_b64 v[2:3], 4, v[8:9]
	v_mul_lo_u32 v9, s43, v8
	v_mad_u64_u32 v[4:5], s[8:9], s42, v8, 0
	v_add_co_u32_e32 v24, vcc, s16, v2
	v_add3_u32 v5, v5, v7, v9
	v_addc_co_u32_e32 v25, vcc, v6, v3, vcc
	v_lshlrev_b64 v[4:5], 4, v[4:5]
	v_cmp_gt_i32_e32 vcc, s46, v8
	s_and_b64 s[10:11], s[2:3], vcc
	v_add_co_u32_e32 v9, vcc, v19, v4
	v_addc_co_u32_e32 v10, vcc, v20, v5, vcc
	v_add_co_u32_e32 v11, vcc, v22, v2
	v_addc_co_u32_e32 v12, vcc, v23, v3, vcc
	s_mov_b32 s21, 0
	s_branch .LBB29_7
.LBB29_6:                               ;   in Loop: Header=BB29_7 Depth=2
	s_or_b64 exec, exec, s[8:9]
	s_add_i32 s21, s21, 32
	s_cmp_ge_i32 s21, s46
	s_waitcnt vmcnt(0)
	s_barrier
	s_cbranch_scc1 .LBB29_3
.LBB29_7:                               ;   Parent Loop BB29_4 Depth=1
                                        ; =>  This Inner Loop Header: Depth=2
	v_add_u32_e32 v27, s21, v1
	v_cmp_gt_i32_e32 vcc, s46, v27
	v_mov_b32_e32 v2, 0
	v_mov_b32_e32 v4, 0
	;; [unrolled: 1-line block ×6, first 2 shown]
	s_and_b64 s[12:13], s[2:3], vcc
	s_and_saveexec_b64 s[8:9], s[12:13]
	s_cbranch_execz .LBB29_9
; %bb.8:                                ;   in Loop: Header=BB29_7 Depth=2
	v_ashrrev_i32_e32 v6, 31, v27
	v_mul_lo_u32 v7, s27, v27
	v_mad_u64_u32 v[4:5], s[12:13], s26, v27, 0
	v_mul_lo_u32 v6, s26, v6
	v_add3_u32 v5, v5, v6, v7
	v_lshlrev_b64 v[4:5], 4, v[4:5]
	v_add_co_u32_e32 v4, vcc, v13, v4
	v_addc_co_u32_e32 v5, vcc, v14, v5, vcc
	global_load_dwordx4 v[4:7], v[4:5], off
.LBB29_9:                               ;   in Loop: Header=BB29_7 Depth=2
	s_or_b64 exec, exec, s[8:9]
	s_waitcnt vmcnt(0)
	ds_write_b128 v16, v[4:7]
	v_add_u32_e32 v6, s21, v0
	v_cndmask_b32_e64 v4, v8, v6, s[0:1]
	v_cndmask_b32_e64 v5, v6, v8, s[0:1]
	v_cmp_gt_i32_e64 s[8:9], v4, v5
	v_cmp_le_i32_e32 vcc, v4, v5
	v_cndmask_b32_e64 v4, v6, v8, s[8:9]
	v_cndmask_b32_e64 v5, v8, v6, s[8:9]
	v_max_i32_e32 v7, v4, v5
	v_mov_b32_e32 v4, 0
	v_mov_b32_e32 v5, 0
	v_cmp_gt_i32_e64 s[8:9], s46, v7
	s_and_saveexec_b64 s[12:13], s[8:9]
	s_cbranch_execz .LBB29_19
; %bb.10:                               ;   in Loop: Header=BB29_7 Depth=2
                                        ; implicit-def: $vgpr4_vgpr5
	s_and_saveexec_b64 s[8:9], vcc
	s_xor_b64 s[8:9], exec, s[8:9]
	s_cbranch_execz .LBB29_16
; %bb.11:                               ;   in Loop: Header=BB29_7 Depth=2
	v_add_u32_e32 v2, s21, v26
	v_cmp_ne_u32_e32 vcc, 0, v2
                                        ; implicit-def: $vgpr4_vgpr5
	s_and_saveexec_b64 s[14:15], vcc
	s_xor_b64 s[14:15], exec, s[14:15]
	s_cbranch_execz .LBB29_13
; %bb.12:                               ;   in Loop: Header=BB29_7 Depth=2
	v_ashrrev_i32_e32 v7, 31, v6
	v_lshlrev_b64 v[2:3], 4, v[6:7]
	v_add_co_u32_e32 v2, vcc, v22, v2
	v_addc_co_u32_e32 v3, vcc, v23, v3, vcc
	global_load_dwordx4 v[2:5], v[2:3], off
.LBB29_13:                              ;   in Loop: Header=BB29_7 Depth=2
	s_andn2_saveexec_b64 s[14:15], s[14:15]
	s_cbranch_execz .LBB29_15
; %bb.14:                               ;   in Loop: Header=BB29_7 Depth=2
	global_load_dwordx2 v[2:3], v[11:12], off
	s_waitcnt vmcnt(1)
	v_mov_b32_e32 v4, 0
	v_mov_b32_e32 v5, 0
.LBB29_15:                              ;   in Loop: Header=BB29_7 Depth=2
	s_or_b64 exec, exec, s[14:15]
                                        ; implicit-def: $vgpr6
.LBB29_16:                              ;   in Loop: Header=BB29_7 Depth=2
	s_andn2_saveexec_b64 s[8:9], s[8:9]
	s_cbranch_execz .LBB29_18
; %bb.17:                               ;   in Loop: Header=BB29_7 Depth=2
	s_waitcnt vmcnt(0)
	v_ashrrev_i32_e32 v4, 31, v6
	v_mul_lo_u32 v5, s19, v6
	v_mad_u64_u32 v[2:3], s[14:15], s18, v6, 0
	v_mul_lo_u32 v4, s18, v4
	v_add3_u32 v3, v3, v4, v5
	v_lshlrev_b64 v[2:3], 4, v[2:3]
	v_add_co_u32_e32 v2, vcc, v24, v2
	v_addc_co_u32_e32 v3, vcc, v25, v3, vcc
	global_load_dwordx4 v[2:5], v[2:3], off
	s_waitcnt vmcnt(0)
	v_xor_b32_e32 v5, 0x80000000, v5
.LBB29_18:                              ;   in Loop: Header=BB29_7 Depth=2
	s_or_b64 exec, exec, s[8:9]
.LBB29_19:                              ;   in Loop: Header=BB29_7 Depth=2
	s_or_b64 exec, exec, s[12:13]
	s_waitcnt vmcnt(0)
	ds_write_b128 v18, v[2:5]
	s_waitcnt lgkmcnt(0)
	s_barrier
	s_and_saveexec_b64 s[8:9], s[10:11]
	s_cbranch_execz .LBB29_6
; %bb.20:                               ;   in Loop: Header=BB29_7 Depth=2
	ds_read_b128 v[27:30], v17
	ds_read_b128 v[31:34], v15
	ds_read_b128 v[35:38], v15 offset:16
	ds_read_b128 v[39:42], v15 offset:32
	;; [unrolled: 1-line block ×3, first 2 shown]
	s_waitcnt lgkmcnt(3)
	v_mul_f64 v[6:7], v[29:30], v[33:34]
	v_fma_f64 v[6:7], v[27:28], v[31:32], -v[6:7]
	v_mul_f64 v[27:28], v[27:28], v[33:34]
	v_add_f64 v[6:7], v[6:7], 0
	v_fma_f64 v[27:28], v[29:30], v[31:32], v[27:28]
	v_add_f64 v[31:32], v[27:28], 0
	ds_read_b128 v[27:30], v17 offset:512
	s_waitcnt lgkmcnt(0)
	v_mul_f64 v[33:34], v[29:30], v[37:38]
	v_fma_f64 v[33:34], v[27:28], v[35:36], -v[33:34]
	v_mul_f64 v[27:28], v[27:28], v[37:38]
	v_add_f64 v[6:7], v[6:7], v[33:34]
	v_fma_f64 v[27:28], v[29:30], v[35:36], v[27:28]
	v_add_f64 v[31:32], v[31:32], v[27:28]
	ds_read_b128 v[27:30], v17 offset:1024
	;; [unrolled: 8-line block ×3, first 2 shown]
	s_waitcnt lgkmcnt(0)
	v_mul_f64 v[33:34], v[29:30], v[4:5]
	v_mul_f64 v[4:5], v[27:28], v[4:5]
	v_fma_f64 v[33:34], v[27:28], v[2:3], -v[33:34]
	v_fma_f64 v[2:3], v[29:30], v[2:3], v[4:5]
	v_add_f64 v[6:7], v[6:7], v[33:34]
	v_add_f64 v[31:32], v[31:32], v[2:3]
	ds_read_b128 v[2:5], v17 offset:2048
	ds_read_b128 v[27:30], v15 offset:64
	s_waitcnt lgkmcnt(0)
	v_mul_f64 v[33:34], v[4:5], v[29:30]
	v_fma_f64 v[33:34], v[2:3], v[27:28], -v[33:34]
	v_mul_f64 v[2:3], v[2:3], v[29:30]
	v_add_f64 v[6:7], v[6:7], v[33:34]
	v_fma_f64 v[2:3], v[4:5], v[27:28], v[2:3]
	v_add_f64 v[31:32], v[31:32], v[2:3]
	ds_read_b128 v[2:5], v17 offset:2560
	ds_read_b128 v[27:30], v15 offset:80
	s_waitcnt lgkmcnt(0)
	v_mul_f64 v[33:34], v[4:5], v[29:30]
	v_fma_f64 v[33:34], v[2:3], v[27:28], -v[33:34]
	v_mul_f64 v[2:3], v[2:3], v[29:30]
	v_add_f64 v[6:7], v[6:7], v[33:34]
	v_fma_f64 v[2:3], v[4:5], v[27:28], v[2:3]
	;; [unrolled: 9-line block ×27, first 2 shown]
	v_add_f64 v[31:32], v[31:32], v[2:3]
	ds_read_b128 v[2:5], v17 offset:15872
	ds_read_b128 v[27:30], v15 offset:496
	s_waitcnt lgkmcnt(0)
	v_mul_f64 v[33:34], v[4:5], v[29:30]
	v_fma_f64 v[33:34], v[2:3], v[27:28], -v[33:34]
	v_mul_f64 v[2:3], v[2:3], v[29:30]
	v_fma_f64 v[2:3], v[4:5], v[27:28], v[2:3]
	global_load_dwordx4 v[27:30], v[9:10], off
	v_add_f64 v[4:5], v[6:7], v[33:34]
	v_add_f64 v[6:7], v[31:32], v[2:3]
	v_mul_f64 v[2:3], s[30:31], v[6:7]
	v_fma_f64 v[2:3], s[28:29], v[4:5], -v[2:3]
	v_mul_f64 v[4:5], s[30:31], v[4:5]
	v_fma_f64 v[4:5], s[28:29], v[6:7], v[4:5]
	s_waitcnt vmcnt(0)
	v_add_f64 v[2:3], v[27:28], v[2:3]
	v_add_f64 v[4:5], v[29:30], v[4:5]
	global_store_dwordx4 v[9:10], v[2:5], off
	s_branch .LBB29_6
.LBB29_21:
	s_endpgm
	.section	.rodata,"a",@progbits
	.p2align	6, 0x0
	.amdhsa_kernel _ZL24rocblas_symm_hemm_kernelILb1ELb1ELi32EPK19rocblas_complex_numIdES3_PS1_EvbiiT2_T3_lllS6_lllT4_llli
		.amdhsa_group_segment_fixed_size 32768
		.amdhsa_private_segment_fixed_size 0
		.amdhsa_kernarg_size 384
		.amdhsa_user_sgpr_count 6
		.amdhsa_user_sgpr_private_segment_buffer 1
		.amdhsa_user_sgpr_dispatch_ptr 0
		.amdhsa_user_sgpr_queue_ptr 0
		.amdhsa_user_sgpr_kernarg_segment_ptr 1
		.amdhsa_user_sgpr_dispatch_id 0
		.amdhsa_user_sgpr_flat_scratch_init 0
		.amdhsa_user_sgpr_private_segment_size 0
		.amdhsa_uses_dynamic_stack 0
		.amdhsa_system_sgpr_private_segment_wavefront_offset 0
		.amdhsa_system_sgpr_workgroup_id_x 1
		.amdhsa_system_sgpr_workgroup_id_y 1
		.amdhsa_system_sgpr_workgroup_id_z 1
		.amdhsa_system_sgpr_workgroup_info 0
		.amdhsa_system_vgpr_workitem_id 1
		.amdhsa_next_free_vgpr 43
		.amdhsa_next_free_sgpr 61
		.amdhsa_reserve_vcc 1
		.amdhsa_reserve_flat_scratch 0
		.amdhsa_float_round_mode_32 0
		.amdhsa_float_round_mode_16_64 0
		.amdhsa_float_denorm_mode_32 3
		.amdhsa_float_denorm_mode_16_64 3
		.amdhsa_dx10_clamp 1
		.amdhsa_ieee_mode 1
		.amdhsa_fp16_overflow 0
		.amdhsa_exception_fp_ieee_invalid_op 0
		.amdhsa_exception_fp_denorm_src 0
		.amdhsa_exception_fp_ieee_div_zero 0
		.amdhsa_exception_fp_ieee_overflow 0
		.amdhsa_exception_fp_ieee_underflow 0
		.amdhsa_exception_fp_ieee_inexact 0
		.amdhsa_exception_int_div_zero 0
	.end_amdhsa_kernel
	.section	.text._ZL24rocblas_symm_hemm_kernelILb1ELb1ELi32EPK19rocblas_complex_numIdES3_PS1_EvbiiT2_T3_lllS6_lllT4_llli,"axG",@progbits,_ZL24rocblas_symm_hemm_kernelILb1ELb1ELi32EPK19rocblas_complex_numIdES3_PS1_EvbiiT2_T3_lllS6_lllT4_llli,comdat
.Lfunc_end29:
	.size	_ZL24rocblas_symm_hemm_kernelILb1ELb1ELi32EPK19rocblas_complex_numIdES3_PS1_EvbiiT2_T3_lllS6_lllT4_llli, .Lfunc_end29-_ZL24rocblas_symm_hemm_kernelILb1ELb1ELi32EPK19rocblas_complex_numIdES3_PS1_EvbiiT2_T3_lllS6_lllT4_llli
                                        ; -- End function
	.set _ZL24rocblas_symm_hemm_kernelILb1ELb1ELi32EPK19rocblas_complex_numIdES3_PS1_EvbiiT2_T3_lllS6_lllT4_llli.num_vgpr, 43
	.set _ZL24rocblas_symm_hemm_kernelILb1ELb1ELi32EPK19rocblas_complex_numIdES3_PS1_EvbiiT2_T3_lllS6_lllT4_llli.num_agpr, 0
	.set _ZL24rocblas_symm_hemm_kernelILb1ELb1ELi32EPK19rocblas_complex_numIdES3_PS1_EvbiiT2_T3_lllS6_lllT4_llli.numbered_sgpr, 48
	.set _ZL24rocblas_symm_hemm_kernelILb1ELb1ELi32EPK19rocblas_complex_numIdES3_PS1_EvbiiT2_T3_lllS6_lllT4_llli.num_named_barrier, 0
	.set _ZL24rocblas_symm_hemm_kernelILb1ELb1ELi32EPK19rocblas_complex_numIdES3_PS1_EvbiiT2_T3_lllS6_lllT4_llli.private_seg_size, 0
	.set _ZL24rocblas_symm_hemm_kernelILb1ELb1ELi32EPK19rocblas_complex_numIdES3_PS1_EvbiiT2_T3_lllS6_lllT4_llli.uses_vcc, 1
	.set _ZL24rocblas_symm_hemm_kernelILb1ELb1ELi32EPK19rocblas_complex_numIdES3_PS1_EvbiiT2_T3_lllS6_lllT4_llli.uses_flat_scratch, 0
	.set _ZL24rocblas_symm_hemm_kernelILb1ELb1ELi32EPK19rocblas_complex_numIdES3_PS1_EvbiiT2_T3_lllS6_lllT4_llli.has_dyn_sized_stack, 0
	.set _ZL24rocblas_symm_hemm_kernelILb1ELb1ELi32EPK19rocblas_complex_numIdES3_PS1_EvbiiT2_T3_lllS6_lllT4_llli.has_recursion, 0
	.set _ZL24rocblas_symm_hemm_kernelILb1ELb1ELi32EPK19rocblas_complex_numIdES3_PS1_EvbiiT2_T3_lllS6_lllT4_llli.has_indirect_call, 0
	.section	.AMDGPU.csdata,"",@progbits
; Kernel info:
; codeLenInByte = 3236
; TotalNumSgprs: 52
; NumVgprs: 43
; ScratchSize: 0
; MemoryBound: 1
; FloatMode: 240
; IeeeMode: 1
; LDSByteSize: 32768 bytes/workgroup (compile time only)
; SGPRBlocks: 8
; VGPRBlocks: 10
; NumSGPRsForWavesPerEU: 65
; NumVGPRsForWavesPerEU: 43
; Occupancy: 5
; WaveLimiterHint : 0
; COMPUTE_PGM_RSRC2:SCRATCH_EN: 0
; COMPUTE_PGM_RSRC2:USER_SGPR: 6
; COMPUTE_PGM_RSRC2:TRAP_HANDLER: 0
; COMPUTE_PGM_RSRC2:TGID_X_EN: 1
; COMPUTE_PGM_RSRC2:TGID_Y_EN: 1
; COMPUTE_PGM_RSRC2:TGID_Z_EN: 1
; COMPUTE_PGM_RSRC2:TIDIG_COMP_CNT: 1
	.section	.text._ZL24rocblas_symm_hemm_kernelILb1ELb0ELi32E19rocblas_complex_numIdEPKS1_PS1_EvbiiT2_T3_lllS6_lllT4_llli,"axG",@progbits,_ZL24rocblas_symm_hemm_kernelILb1ELb0ELi32E19rocblas_complex_numIdEPKS1_PS1_EvbiiT2_T3_lllS6_lllT4_llli,comdat
	.globl	_ZL24rocblas_symm_hemm_kernelILb1ELb0ELi32E19rocblas_complex_numIdEPKS1_PS1_EvbiiT2_T3_lllS6_lllT4_llli ; -- Begin function _ZL24rocblas_symm_hemm_kernelILb1ELb0ELi32E19rocblas_complex_numIdEPKS1_PS1_EvbiiT2_T3_lllS6_lllT4_llli
	.p2align	8
	.type	_ZL24rocblas_symm_hemm_kernelILb1ELb0ELi32E19rocblas_complex_numIdEPKS1_PS1_EvbiiT2_T3_lllS6_lllT4_llli,@function
_ZL24rocblas_symm_hemm_kernelILb1ELb0ELi32E19rocblas_complex_numIdEPKS1_PS1_EvbiiT2_T3_lllS6_lllT4_llli: ; @_ZL24rocblas_symm_hemm_kernelILb1ELb0ELi32E19rocblas_complex_numIdEPKS1_PS1_EvbiiT2_T3_lllS6_lllT4_llli
; %bb.0:
	s_load_dwordx16 s[12:27], s[4:5], 0x10
	s_waitcnt lgkmcnt(0)
	v_cmp_eq_f64_e64 s[0:1], s[12:13], 0
	v_cmp_eq_f64_e64 s[2:3], s[14:15], 0
	s_and_b64 s[0:1], s[0:1], s[2:3]
	s_and_b64 vcc, exec, s[0:1]
	s_cbranch_vccnz .LBB30_21
; %bb.1:
	s_load_dwordx4 s[28:31], s[4:5], 0x0
	s_waitcnt lgkmcnt(0)
	s_add_i32 s0, s30, -1
	s_ashr_i32 s1, s0, 31
	s_lshr_b32 s1, s1, 27
	s_add_i32 s0, s0, s1
	s_ashr_i32 s31, s0, 5
	s_cmp_gt_i32 s7, s31
	s_cbranch_scc1 .LBB30_21
; %bb.2:
	s_load_dwordx8 s[36:43], s[4:5], 0x50
	s_load_dwordx4 s[44:47], s[4:5], 0x70
	v_lshl_add_u32 v8, s6, 5, v0
	v_ashrrev_i32_e32 v9, 31, v8
	v_lshlrev_b64 v[2:3], 4, v[8:9]
	s_waitcnt lgkmcnt(0)
	s_mul_i32 s1, s39, s8
	s_mul_hi_u32 s2, s38, s8
	s_mul_i32 s0, s38, s8
	s_add_i32 s1, s2, s1
	s_lshl_b64 s[0:1], s[0:1], 4
	s_add_u32 s2, s24, s0
	s_addc_u32 s3, s25, s1
	s_lshl_b64 s[0:1], s[26:27], 4
	s_add_u32 s24, s2, s0
	s_addc_u32 s25, s3, s1
	s_bitcmp1_b32 s28, 0
	s_mul_i32 s2, s47, s8
	s_mul_hi_u32 s3, s46, s8
	s_cselect_b64 s[0:1], -1, 0
	s_add_i32 s3, s3, s2
	s_mul_i32 s2, s46, s8
	s_lshl_b64 s[2:3], s[2:3], 4
	s_load_dword s26, s[4:5], 0x8c
	s_add_u32 s4, s40, s2
	s_addc_u32 s5, s41, s3
	s_lshl_b64 s[2:3], s[42:43], 4
	s_add_u32 s4, s4, s2
	s_addc_u32 s5, s5, s3
	s_mul_i32 s2, s23, s8
	s_mul_hi_u32 s3, s22, s8
	s_add_i32 s3, s3, s2
	s_mul_i32 s2, s22, s8
	s_lshl_b64 s[2:3], s[2:3], 4
	s_add_u32 s8, s16, s2
	s_addc_u32 s9, s17, s3
	s_lshl_b64 s[2:3], s[18:19], 4
	s_add_u32 s8, s8, s2
	s_addc_u32 s9, s9, s3
	v_mul_lo_u32 v7, s20, v9
	v_mul_lo_u32 v9, s21, v8
	v_mad_u64_u32 v[4:5], s[2:3], s20, v8, 0
	v_mov_b32_e32 v6, s9
	v_add_co_u32_e32 v15, vcc, s8, v2
	v_add3_u32 v5, v5, v7, v9
	v_lshlrev_b64 v[4:5], 4, v[4:5]
	v_addc_co_u32_e32 v16, vcc, v6, v3, vcc
	v_add_co_u32_e32 v17, vcc, s8, v4
	v_addc_co_u32_e32 v18, vcc, v6, v5, vcc
	v_lshlrev_b32_e32 v19, 9, v0
	v_lshlrev_b32_e32 v6, 4, v1
	s_cmp_gt_i32 s29, 0
	v_add_u32_e32 v20, v19, v6
	v_or_b32_e32 v21, 0x4000, v6
	v_mov_b32_e32 v6, s5
	v_add_co_u32_e32 v23, vcc, s4, v2
	v_addc_co_u32_e32 v24, vcc, v6, v3, vcc
	s_cselect_b64 s[4:5], -1, 0
	v_add_co_u32_e32 v9, vcc, v15, v4
	v_cndmask_b32_e64 v2, 0, 1, s[4:5]
	v_add_u32_e32 v22, v21, v19
	v_cmp_gt_i32_e64 s[2:3], s29, v8
	v_addc_co_u32_e32 v10, vcc, v16, v5, vcc
	v_cmp_ne_u32_e64 s[4:5], 1, v2
	s_branch .LBB30_4
.LBB30_3:                               ;   in Loop: Header=BB30_4 Depth=1
	s_waitcnt lgkmcnt(0)
	s_add_i32 s7, s7, s26
	s_cmp_gt_i32 s7, s31
	s_cbranch_scc1 .LBB30_21
.LBB30_4:                               ; =>This Loop Header: Depth=1
                                        ;     Child Loop BB30_7 Depth 2
	s_and_b64 vcc, exec, s[4:5]
	s_cbranch_vccnz .LBB30_3
; %bb.5:                                ;   in Loop: Header=BB30_4 Depth=1
	v_lshl_add_u32 v4, s7, 5, v1
	v_ashrrev_i32_e32 v5, 31, v4
	v_mul_lo_u32 v6, s36, v5
	v_mul_lo_u32 v7, s37, v4
	v_mad_u64_u32 v[2:3], s[8:9], s36, v4, 0
	v_cmp_gt_i32_e32 vcc, s30, v4
	v_mul_lo_u32 v11, s45, v4
	v_add3_u32 v3, v3, v6, v7
	v_mul_lo_u32 v7, s44, v5
	v_mad_u64_u32 v[4:5], s[8:9], s44, v4, 0
	v_lshlrev_b64 v[2:3], 4, v[2:3]
	v_mov_b32_e32 v6, s25
	v_add_co_u32_e64 v25, s[8:9], s24, v2
	v_add3_u32 v5, v5, v7, v11
	v_addc_co_u32_e64 v26, s[8:9], v6, v3, s[8:9]
	v_lshlrev_b64 v[2:3], 4, v[4:5]
	s_and_b64 s[16:17], s[2:3], vcc
	v_add_co_u32_e64 v11, s[8:9], v23, v2
	v_addc_co_u32_e64 v12, s[8:9], v24, v3, s[8:9]
	s_mov_b32 s6, 0
	s_branch .LBB30_7
.LBB30_6:                               ;   in Loop: Header=BB30_7 Depth=2
	s_or_b64 exec, exec, s[8:9]
	s_add_i32 s6, s6, 32
	s_cmp_ge_i32 s6, s29
	s_waitcnt vmcnt(0)
	s_barrier
	s_cbranch_scc1 .LBB30_3
.LBB30_7:                               ;   Parent Loop BB30_4 Depth=1
                                        ; =>  This Inner Loop Header: Depth=2
	v_add_u32_e32 v13, s6, v1
	v_cndmask_b32_e64 v2, v13, v8, s[0:1]
	v_cndmask_b32_e64 v3, v8, v13, s[0:1]
	v_cmp_gt_i32_e64 s[10:11], v2, v3
	v_cmp_le_i32_e64 s[8:9], v2, v3
	v_cndmask_b32_e64 v2, v8, v13, s[10:11]
	v_cndmask_b32_e64 v3, v13, v8, s[10:11]
	v_max_i32_e32 v14, v2, v3
	v_mov_b32_e32 v2, 0
	v_mov_b32_e32 v4, 0
	;; [unrolled: 1-line block ×6, first 2 shown]
	v_cmp_gt_i32_e64 s[10:11], s29, v14
	s_and_saveexec_b64 s[18:19], s[10:11]
	s_cbranch_execz .LBB30_17
; %bb.8:                                ;   in Loop: Header=BB30_7 Depth=2
                                        ; implicit-def: $vgpr6_vgpr7
	s_and_saveexec_b64 s[10:11], s[8:9]
	s_xor_b64 s[10:11], exec, s[10:11]
	s_cbranch_execz .LBB30_14
; %bb.9:                                ;   in Loop: Header=BB30_7 Depth=2
	v_cmp_ne_u32_e64 s[8:9], v13, v8
                                        ; implicit-def: $vgpr6_vgpr7
	s_and_saveexec_b64 s[22:23], s[8:9]
	s_xor_b64 s[22:23], exec, s[22:23]
	s_cbranch_execz .LBB30_11
; %bb.10:                               ;   in Loop: Header=BB30_7 Depth=2
	v_ashrrev_i32_e32 v6, 31, v13
	v_mul_lo_u32 v7, s21, v13
	v_mad_u64_u32 v[4:5], s[8:9], s20, v13, 0
	v_mul_lo_u32 v6, s20, v6
	v_add3_u32 v5, v5, v6, v7
	v_lshlrev_b64 v[4:5], 4, v[4:5]
	v_add_co_u32_e64 v4, s[8:9], v15, v4
	v_addc_co_u32_e64 v5, s[8:9], v16, v5, s[8:9]
	global_load_dwordx4 v[4:7], v[4:5], off
.LBB30_11:                              ;   in Loop: Header=BB30_7 Depth=2
	s_andn2_saveexec_b64 s[8:9], s[22:23]
	s_cbranch_execz .LBB30_13
; %bb.12:                               ;   in Loop: Header=BB30_7 Depth=2
	global_load_dwordx2 v[4:5], v[9:10], off
	s_waitcnt vmcnt(1)
	v_mov_b32_e32 v6, 0
	v_mov_b32_e32 v7, 0
.LBB30_13:                              ;   in Loop: Header=BB30_7 Depth=2
	s_or_b64 exec, exec, s[8:9]
                                        ; implicit-def: $vgpr13
.LBB30_14:                              ;   in Loop: Header=BB30_7 Depth=2
	s_andn2_saveexec_b64 s[10:11], s[10:11]
	s_cbranch_execz .LBB30_16
; %bb.15:                               ;   in Loop: Header=BB30_7 Depth=2
	v_ashrrev_i32_e32 v14, 31, v13
	s_waitcnt vmcnt(0)
	v_lshlrev_b64 v[4:5], 4, v[13:14]
	v_add_co_u32_e64 v4, s[8:9], v17, v4
	v_addc_co_u32_e64 v5, s[8:9], v18, v5, s[8:9]
	global_load_dwordx4 v[4:7], v[4:5], off
	s_waitcnt vmcnt(0)
	v_xor_b32_e32 v7, 0x80000000, v7
.LBB30_16:                              ;   in Loop: Header=BB30_7 Depth=2
	s_or_b64 exec, exec, s[10:11]
.LBB30_17:                              ;   in Loop: Header=BB30_7 Depth=2
	s_or_b64 exec, exec, s[18:19]
	s_waitcnt vmcnt(0)
	ds_write_b128 v20, v[4:7]
	v_add_u32_e32 v6, s6, v0
	v_cmp_gt_i32_e64 s[8:9], s29, v6
	v_mov_b32_e32 v4, 0
	v_mov_b32_e32 v5, 0
	s_and_b64 s[8:9], s[8:9], vcc
	s_and_saveexec_b64 s[10:11], s[8:9]
	s_cbranch_execz .LBB30_19
; %bb.18:                               ;   in Loop: Header=BB30_7 Depth=2
	v_ashrrev_i32_e32 v7, 31, v6
	v_lshlrev_b64 v[2:3], 4, v[6:7]
	v_add_co_u32_e64 v2, s[8:9], v25, v2
	v_addc_co_u32_e64 v3, s[8:9], v26, v3, s[8:9]
	global_load_dwordx4 v[2:5], v[2:3], off
.LBB30_19:                              ;   in Loop: Header=BB30_7 Depth=2
	s_or_b64 exec, exec, s[10:11]
	s_waitcnt vmcnt(0)
	ds_write_b128 v22, v[2:5]
	s_waitcnt lgkmcnt(0)
	s_barrier
	s_and_saveexec_b64 s[8:9], s[16:17]
	s_cbranch_execz .LBB30_6
; %bb.20:                               ;   in Loop: Header=BB30_7 Depth=2
	ds_read_b128 v[27:30], v21
	ds_read_b128 v[31:34], v19
	ds_read_b128 v[35:38], v19 offset:16
	ds_read_b128 v[39:42], v19 offset:32
	;; [unrolled: 1-line block ×3, first 2 shown]
	s_waitcnt lgkmcnt(3)
	v_mul_f64 v[6:7], v[29:30], v[33:34]
	v_mul_f64 v[13:14], v[27:28], v[33:34]
	v_fma_f64 v[6:7], v[27:28], v[31:32], -v[6:7]
	v_fma_f64 v[13:14], v[29:30], v[31:32], v[13:14]
	ds_read_b128 v[27:30], v21 offset:512
	s_waitcnt lgkmcnt(0)
	v_mul_f64 v[31:32], v[29:30], v[37:38]
	v_add_f64 v[6:7], v[6:7], 0
	v_add_f64 v[13:14], v[13:14], 0
	v_fma_f64 v[31:32], v[27:28], v[35:36], -v[31:32]
	v_mul_f64 v[27:28], v[27:28], v[37:38]
	v_add_f64 v[6:7], v[6:7], v[31:32]
	v_fma_f64 v[27:28], v[29:30], v[35:36], v[27:28]
	v_add_f64 v[13:14], v[13:14], v[27:28]
	ds_read_b128 v[27:30], v21 offset:1024
	s_waitcnt lgkmcnt(0)
	v_mul_f64 v[31:32], v[29:30], v[41:42]
	v_fma_f64 v[31:32], v[27:28], v[39:40], -v[31:32]
	v_mul_f64 v[27:28], v[27:28], v[41:42]
	v_add_f64 v[6:7], v[6:7], v[31:32]
	v_fma_f64 v[27:28], v[29:30], v[39:40], v[27:28]
	v_add_f64 v[13:14], v[13:14], v[27:28]
	ds_read_b128 v[27:30], v21 offset:1536
	s_waitcnt lgkmcnt(0)
	v_mul_f64 v[31:32], v[29:30], v[4:5]
	v_mul_f64 v[4:5], v[27:28], v[4:5]
	v_fma_f64 v[31:32], v[27:28], v[2:3], -v[31:32]
	v_fma_f64 v[2:3], v[29:30], v[2:3], v[4:5]
	v_add_f64 v[6:7], v[6:7], v[31:32]
	v_add_f64 v[13:14], v[13:14], v[2:3]
	ds_read_b128 v[2:5], v21 offset:2048
	ds_read_b128 v[27:30], v19 offset:64
	s_waitcnt lgkmcnt(0)
	v_mul_f64 v[31:32], v[4:5], v[29:30]
	v_fma_f64 v[31:32], v[2:3], v[27:28], -v[31:32]
	v_mul_f64 v[2:3], v[2:3], v[29:30]
	v_add_f64 v[6:7], v[6:7], v[31:32]
	v_fma_f64 v[2:3], v[4:5], v[27:28], v[2:3]
	v_add_f64 v[13:14], v[13:14], v[2:3]
	ds_read_b128 v[2:5], v21 offset:2560
	ds_read_b128 v[27:30], v19 offset:80
	s_waitcnt lgkmcnt(0)
	v_mul_f64 v[31:32], v[4:5], v[29:30]
	v_fma_f64 v[31:32], v[2:3], v[27:28], -v[31:32]
	v_mul_f64 v[2:3], v[2:3], v[29:30]
	v_add_f64 v[6:7], v[6:7], v[31:32]
	v_fma_f64 v[2:3], v[4:5], v[27:28], v[2:3]
	;; [unrolled: 9-line block ×27, first 2 shown]
	v_add_f64 v[13:14], v[13:14], v[2:3]
	ds_read_b128 v[2:5], v21 offset:15872
	ds_read_b128 v[27:30], v19 offset:496
	s_waitcnt lgkmcnt(0)
	v_mul_f64 v[31:32], v[4:5], v[29:30]
	v_fma_f64 v[31:32], v[2:3], v[27:28], -v[31:32]
	v_mul_f64 v[2:3], v[2:3], v[29:30]
	v_fma_f64 v[2:3], v[4:5], v[27:28], v[2:3]
	global_load_dwordx4 v[27:30], v[11:12], off
	v_add_f64 v[4:5], v[6:7], v[31:32]
	v_add_f64 v[6:7], v[13:14], v[2:3]
	v_mul_f64 v[2:3], s[14:15], v[6:7]
	v_fma_f64 v[2:3], s[12:13], v[4:5], -v[2:3]
	v_mul_f64 v[4:5], s[14:15], v[4:5]
	v_fma_f64 v[4:5], s[12:13], v[6:7], v[4:5]
	s_waitcnt vmcnt(0)
	v_add_f64 v[2:3], v[27:28], v[2:3]
	v_add_f64 v[4:5], v[29:30], v[4:5]
	global_store_dwordx4 v[11:12], v[2:5], off
	s_branch .LBB30_6
.LBB30_21:
	s_endpgm
	.section	.rodata,"a",@progbits
	.p2align	6, 0x0
	.amdhsa_kernel _ZL24rocblas_symm_hemm_kernelILb1ELb0ELi32E19rocblas_complex_numIdEPKS1_PS1_EvbiiT2_T3_lllS6_lllT4_llli
		.amdhsa_group_segment_fixed_size 32768
		.amdhsa_private_segment_fixed_size 0
		.amdhsa_kernarg_size 392
		.amdhsa_user_sgpr_count 6
		.amdhsa_user_sgpr_private_segment_buffer 1
		.amdhsa_user_sgpr_dispatch_ptr 0
		.amdhsa_user_sgpr_queue_ptr 0
		.amdhsa_user_sgpr_kernarg_segment_ptr 1
		.amdhsa_user_sgpr_dispatch_id 0
		.amdhsa_user_sgpr_flat_scratch_init 0
		.amdhsa_user_sgpr_private_segment_size 0
		.amdhsa_uses_dynamic_stack 0
		.amdhsa_system_sgpr_private_segment_wavefront_offset 0
		.amdhsa_system_sgpr_workgroup_id_x 1
		.amdhsa_system_sgpr_workgroup_id_y 1
		.amdhsa_system_sgpr_workgroup_id_z 1
		.amdhsa_system_sgpr_workgroup_info 0
		.amdhsa_system_vgpr_workitem_id 1
		.amdhsa_next_free_vgpr 43
		.amdhsa_next_free_sgpr 61
		.amdhsa_reserve_vcc 1
		.amdhsa_reserve_flat_scratch 0
		.amdhsa_float_round_mode_32 0
		.amdhsa_float_round_mode_16_64 0
		.amdhsa_float_denorm_mode_32 3
		.amdhsa_float_denorm_mode_16_64 3
		.amdhsa_dx10_clamp 1
		.amdhsa_ieee_mode 1
		.amdhsa_fp16_overflow 0
		.amdhsa_exception_fp_ieee_invalid_op 0
		.amdhsa_exception_fp_denorm_src 0
		.amdhsa_exception_fp_ieee_div_zero 0
		.amdhsa_exception_fp_ieee_overflow 0
		.amdhsa_exception_fp_ieee_underflow 0
		.amdhsa_exception_fp_ieee_inexact 0
		.amdhsa_exception_int_div_zero 0
	.end_amdhsa_kernel
	.section	.text._ZL24rocblas_symm_hemm_kernelILb1ELb0ELi32E19rocblas_complex_numIdEPKS1_PS1_EvbiiT2_T3_lllS6_lllT4_llli,"axG",@progbits,_ZL24rocblas_symm_hemm_kernelILb1ELb0ELi32E19rocblas_complex_numIdEPKS1_PS1_EvbiiT2_T3_lllS6_lllT4_llli,comdat
.Lfunc_end30:
	.size	_ZL24rocblas_symm_hemm_kernelILb1ELb0ELi32E19rocblas_complex_numIdEPKS1_PS1_EvbiiT2_T3_lllS6_lllT4_llli, .Lfunc_end30-_ZL24rocblas_symm_hemm_kernelILb1ELb0ELi32E19rocblas_complex_numIdEPKS1_PS1_EvbiiT2_T3_lllS6_lllT4_llli
                                        ; -- End function
	.set _ZL24rocblas_symm_hemm_kernelILb1ELb0ELi32E19rocblas_complex_numIdEPKS1_PS1_EvbiiT2_T3_lllS6_lllT4_llli.num_vgpr, 43
	.set _ZL24rocblas_symm_hemm_kernelILb1ELb0ELi32E19rocblas_complex_numIdEPKS1_PS1_EvbiiT2_T3_lllS6_lllT4_llli.num_agpr, 0
	.set _ZL24rocblas_symm_hemm_kernelILb1ELb0ELi32E19rocblas_complex_numIdEPKS1_PS1_EvbiiT2_T3_lllS6_lllT4_llli.numbered_sgpr, 48
	.set _ZL24rocblas_symm_hemm_kernelILb1ELb0ELi32E19rocblas_complex_numIdEPKS1_PS1_EvbiiT2_T3_lllS6_lllT4_llli.num_named_barrier, 0
	.set _ZL24rocblas_symm_hemm_kernelILb1ELb0ELi32E19rocblas_complex_numIdEPKS1_PS1_EvbiiT2_T3_lllS6_lllT4_llli.private_seg_size, 0
	.set _ZL24rocblas_symm_hemm_kernelILb1ELb0ELi32E19rocblas_complex_numIdEPKS1_PS1_EvbiiT2_T3_lllS6_lllT4_llli.uses_vcc, 1
	.set _ZL24rocblas_symm_hemm_kernelILb1ELb0ELi32E19rocblas_complex_numIdEPKS1_PS1_EvbiiT2_T3_lllS6_lllT4_llli.uses_flat_scratch, 0
	.set _ZL24rocblas_symm_hemm_kernelILb1ELb0ELi32E19rocblas_complex_numIdEPKS1_PS1_EvbiiT2_T3_lllS6_lllT4_llli.has_dyn_sized_stack, 0
	.set _ZL24rocblas_symm_hemm_kernelILb1ELb0ELi32E19rocblas_complex_numIdEPKS1_PS1_EvbiiT2_T3_lllS6_lllT4_llli.has_recursion, 0
	.set _ZL24rocblas_symm_hemm_kernelILb1ELb0ELi32E19rocblas_complex_numIdEPKS1_PS1_EvbiiT2_T3_lllS6_lllT4_llli.has_indirect_call, 0
	.section	.AMDGPU.csdata,"",@progbits
; Kernel info:
; codeLenInByte = 3248
; TotalNumSgprs: 52
; NumVgprs: 43
; ScratchSize: 0
; MemoryBound: 1
; FloatMode: 240
; IeeeMode: 1
; LDSByteSize: 32768 bytes/workgroup (compile time only)
; SGPRBlocks: 8
; VGPRBlocks: 10
; NumSGPRsForWavesPerEU: 65
; NumVGPRsForWavesPerEU: 43
; Occupancy: 5
; WaveLimiterHint : 0
; COMPUTE_PGM_RSRC2:SCRATCH_EN: 0
; COMPUTE_PGM_RSRC2:USER_SGPR: 6
; COMPUTE_PGM_RSRC2:TRAP_HANDLER: 0
; COMPUTE_PGM_RSRC2:TGID_X_EN: 1
; COMPUTE_PGM_RSRC2:TGID_Y_EN: 1
; COMPUTE_PGM_RSRC2:TGID_Z_EN: 1
; COMPUTE_PGM_RSRC2:TIDIG_COMP_CNT: 1
	.section	.text._ZL24rocblas_symm_hemm_kernelILb1ELb1ELi32E19rocblas_complex_numIdEPKS1_PS1_EvbiiT2_T3_lllS6_lllT4_llli,"axG",@progbits,_ZL24rocblas_symm_hemm_kernelILb1ELb1ELi32E19rocblas_complex_numIdEPKS1_PS1_EvbiiT2_T3_lllS6_lllT4_llli,comdat
	.globl	_ZL24rocblas_symm_hemm_kernelILb1ELb1ELi32E19rocblas_complex_numIdEPKS1_PS1_EvbiiT2_T3_lllS6_lllT4_llli ; -- Begin function _ZL24rocblas_symm_hemm_kernelILb1ELb1ELi32E19rocblas_complex_numIdEPKS1_PS1_EvbiiT2_T3_lllS6_lllT4_llli
	.p2align	8
	.type	_ZL24rocblas_symm_hemm_kernelILb1ELb1ELi32E19rocblas_complex_numIdEPKS1_PS1_EvbiiT2_T3_lllS6_lllT4_llli,@function
_ZL24rocblas_symm_hemm_kernelILb1ELb1ELi32E19rocblas_complex_numIdEPKS1_PS1_EvbiiT2_T3_lllS6_lllT4_llli: ; @_ZL24rocblas_symm_hemm_kernelILb1ELb1ELi32E19rocblas_complex_numIdEPKS1_PS1_EvbiiT2_T3_lllS6_lllT4_llli
; %bb.0:
	s_load_dwordx16 s[12:27], s[4:5], 0x10
	s_waitcnt lgkmcnt(0)
	v_cmp_eq_f64_e64 s[0:1], s[12:13], 0
	v_cmp_eq_f64_e64 s[2:3], s[14:15], 0
	s_and_b64 s[0:1], s[0:1], s[2:3]
	s_and_b64 vcc, exec, s[0:1]
	s_cbranch_vccnz .LBB31_21
; %bb.1:
	s_load_dwordx4 s[28:31], s[4:5], 0x0
	s_waitcnt lgkmcnt(0)
	s_add_i32 s0, s30, -1
	s_ashr_i32 s1, s0, 31
	s_lshr_b32 s1, s1, 27
	s_add_i32 s0, s0, s1
	s_ashr_i32 s31, s0, 5
	s_cmp_gt_i32 s7, s31
	s_cbranch_scc1 .LBB31_21
; %bb.2:
	s_mul_i32 s0, s23, s8
	s_mul_hi_u32 s1, s22, s8
	s_add_i32 s1, s1, s0
	s_mul_i32 s0, s22, s8
	s_lshl_b64 s[0:1], s[0:1], 4
	s_add_u32 s2, s16, s0
	s_addc_u32 s3, s17, s1
	s_lshl_b64 s[0:1], s[18:19], 4
	s_load_dwordx4 s[16:19], s[4:5], 0x70
	s_add_u32 s33, s2, s0
	s_addc_u32 s34, s3, s1
	s_bitcmp1_b32 s28, 0
	s_load_dwordx8 s[36:43], s[4:5], 0x50
	s_load_dword s28, s[4:5], 0x8c
	s_waitcnt lgkmcnt(0)
	s_mul_i32 s2, s19, s8
	s_mul_hi_u32 s3, s18, s8
	s_cselect_b64 s[0:1], -1, 0
	s_add_i32 s3, s3, s2
	s_mul_i32 s2, s18, s8
	s_lshl_b64 s[2:3], s[2:3], 4
	s_add_u32 s4, s40, s2
	s_addc_u32 s5, s41, s3
	s_lshl_b64 s[2:3], s[42:43], 4
	s_add_u32 s9, s4, s2
	s_addc_u32 s10, s5, s3
	s_mul_i32 s2, s39, s8
	s_mul_hi_u32 s3, s38, s8
	s_add_i32 s3, s3, s2
	s_mul_i32 s2, s38, s8
	s_lshl_b64 s[2:3], s[2:3], 4
	s_add_u32 s4, s24, s2
	s_addc_u32 s5, s25, s3
	s_lshl_b64 s[2:3], s[26:27], 4
	v_lshl_add_u32 v2, s6, 5, v0
	s_add_u32 s8, s4, s2
	v_ashrrev_i32_e32 v3, 31, v2
	s_addc_u32 s11, s5, s3
	v_cmp_gt_i32_e64 s[2:3], s29, v2
	v_lshlrev_b64 v[2:3], 4, v[2:3]
	v_mov_b32_e32 v4, s11
	v_add_co_u32_e32 v13, vcc, s8, v2
	s_cmp_gt_i32 s30, 0
	v_addc_co_u32_e32 v14, vcc, v4, v3, vcc
	s_cselect_b64 s[4:5], -1, 0
	v_lshlrev_b32_e32 v15, 9, v0
	v_lshlrev_b32_e32 v4, 4, v1
	v_add_co_u32_e32 v19, vcc, s9, v2
	v_lshl_add_u32 v2, s7, 5, v1
	v_add_u32_e32 v16, v15, v4
	v_or_b32_e32 v17, 0x4000, v4
	v_mov_b32_e32 v4, s10
	v_sub_u32_e32 v21, 0, v2
	v_cndmask_b32_e64 v2, 0, 1, s[4:5]
	v_add_u32_e32 v18, v17, v15
	v_addc_co_u32_e32 v20, vcc, v4, v3, vcc
	s_lshl_b32 s6, s28, 5
	v_cmp_ne_u32_e64 s[4:5], 1, v2
	s_branch .LBB31_4
.LBB31_3:                               ;   in Loop: Header=BB31_4 Depth=1
	s_add_i32 s7, s7, s28
	s_cmp_gt_i32 s7, s31
	v_subrev_u32_e32 v21, s6, v21
	s_cbranch_scc1 .LBB31_21
.LBB31_4:                               ; =>This Loop Header: Depth=1
                                        ;     Child Loop BB31_7 Depth 2
	s_and_b64 vcc, exec, s[4:5]
	s_cbranch_vccnz .LBB31_3
; %bb.5:                                ;   in Loop: Header=BB31_4 Depth=1
	v_lshl_add_u32 v8, s7, 5, v1
	v_ashrrev_i32_e32 v9, 31, v8
	v_mul_lo_u32 v4, s21, v8
	v_mad_u64_u32 v[2:3], s[8:9], s20, v8, 0
	v_mul_lo_u32 v5, s20, v9
	v_mul_lo_u32 v7, s16, v9
	v_mov_b32_e32 v6, s34
	v_add_u32_e32 v26, v0, v21
	v_add3_u32 v3, v3, v5, v4
	v_lshlrev_b64 v[2:3], 4, v[2:3]
	v_mov_b32_e32 v4, s34
	v_add_co_u32_e32 v22, vcc, s33, v2
	v_addc_co_u32_e32 v23, vcc, v4, v3, vcc
	v_lshlrev_b64 v[2:3], 4, v[8:9]
	v_mul_lo_u32 v9, s17, v8
	v_mad_u64_u32 v[4:5], s[8:9], s16, v8, 0
	v_add_co_u32_e32 v24, vcc, s33, v2
	v_add3_u32 v5, v5, v7, v9
	v_addc_co_u32_e32 v25, vcc, v6, v3, vcc
	v_lshlrev_b64 v[4:5], 4, v[4:5]
	v_cmp_gt_i32_e32 vcc, s30, v8
	s_and_b64 s[10:11], s[2:3], vcc
	v_add_co_u32_e32 v9, vcc, v19, v4
	v_addc_co_u32_e32 v10, vcc, v20, v5, vcc
	v_add_co_u32_e32 v11, vcc, v22, v2
	v_addc_co_u32_e32 v12, vcc, v23, v3, vcc
	s_mov_b32 s24, 0
	s_branch .LBB31_7
.LBB31_6:                               ;   in Loop: Header=BB31_7 Depth=2
	s_or_b64 exec, exec, s[8:9]
	s_add_i32 s24, s24, 32
	s_cmp_ge_i32 s24, s30
	s_waitcnt vmcnt(0)
	s_barrier
	s_cbranch_scc1 .LBB31_3
.LBB31_7:                               ;   Parent Loop BB31_4 Depth=1
                                        ; =>  This Inner Loop Header: Depth=2
	v_add_u32_e32 v27, s24, v1
	v_cmp_gt_i32_e32 vcc, s30, v27
	v_mov_b32_e32 v2, 0
	v_mov_b32_e32 v4, 0
	;; [unrolled: 1-line block ×6, first 2 shown]
	s_and_b64 s[18:19], s[2:3], vcc
	s_and_saveexec_b64 s[8:9], s[18:19]
	s_cbranch_execz .LBB31_9
; %bb.8:                                ;   in Loop: Header=BB31_7 Depth=2
	v_ashrrev_i32_e32 v6, 31, v27
	v_mul_lo_u32 v7, s37, v27
	v_mad_u64_u32 v[4:5], s[18:19], s36, v27, 0
	v_mul_lo_u32 v6, s36, v6
	v_add3_u32 v5, v5, v6, v7
	v_lshlrev_b64 v[4:5], 4, v[4:5]
	v_add_co_u32_e32 v4, vcc, v13, v4
	v_addc_co_u32_e32 v5, vcc, v14, v5, vcc
	global_load_dwordx4 v[4:7], v[4:5], off
.LBB31_9:                               ;   in Loop: Header=BB31_7 Depth=2
	s_or_b64 exec, exec, s[8:9]
	s_waitcnt vmcnt(0)
	ds_write_b128 v16, v[4:7]
	v_add_u32_e32 v6, s24, v0
	v_cndmask_b32_e64 v4, v8, v6, s[0:1]
	v_cndmask_b32_e64 v5, v6, v8, s[0:1]
	v_cmp_gt_i32_e64 s[8:9], v4, v5
	v_cmp_le_i32_e32 vcc, v4, v5
	v_cndmask_b32_e64 v4, v6, v8, s[8:9]
	v_cndmask_b32_e64 v5, v8, v6, s[8:9]
	v_max_i32_e32 v7, v4, v5
	v_mov_b32_e32 v4, 0
	v_mov_b32_e32 v5, 0
	v_cmp_gt_i32_e64 s[8:9], s30, v7
	s_and_saveexec_b64 s[18:19], s[8:9]
	s_cbranch_execz .LBB31_19
; %bb.10:                               ;   in Loop: Header=BB31_7 Depth=2
                                        ; implicit-def: $vgpr4_vgpr5
	s_and_saveexec_b64 s[8:9], vcc
	s_xor_b64 s[8:9], exec, s[8:9]
	s_cbranch_execz .LBB31_16
; %bb.11:                               ;   in Loop: Header=BB31_7 Depth=2
	v_add_u32_e32 v2, s24, v26
	v_cmp_ne_u32_e32 vcc, 0, v2
                                        ; implicit-def: $vgpr4_vgpr5
	s_and_saveexec_b64 s[22:23], vcc
	s_xor_b64 s[22:23], exec, s[22:23]
	s_cbranch_execz .LBB31_13
; %bb.12:                               ;   in Loop: Header=BB31_7 Depth=2
	v_ashrrev_i32_e32 v7, 31, v6
	v_lshlrev_b64 v[2:3], 4, v[6:7]
	v_add_co_u32_e32 v2, vcc, v22, v2
	v_addc_co_u32_e32 v3, vcc, v23, v3, vcc
	global_load_dwordx4 v[2:5], v[2:3], off
.LBB31_13:                              ;   in Loop: Header=BB31_7 Depth=2
	s_andn2_saveexec_b64 s[22:23], s[22:23]
	s_cbranch_execz .LBB31_15
; %bb.14:                               ;   in Loop: Header=BB31_7 Depth=2
	global_load_dwordx2 v[2:3], v[11:12], off
	s_waitcnt vmcnt(1)
	v_mov_b32_e32 v4, 0
	v_mov_b32_e32 v5, 0
.LBB31_15:                              ;   in Loop: Header=BB31_7 Depth=2
	s_or_b64 exec, exec, s[22:23]
                                        ; implicit-def: $vgpr6
.LBB31_16:                              ;   in Loop: Header=BB31_7 Depth=2
	s_andn2_saveexec_b64 s[8:9], s[8:9]
	s_cbranch_execz .LBB31_18
; %bb.17:                               ;   in Loop: Header=BB31_7 Depth=2
	s_waitcnt vmcnt(0)
	v_ashrrev_i32_e32 v4, 31, v6
	v_mul_lo_u32 v5, s21, v6
	v_mad_u64_u32 v[2:3], s[22:23], s20, v6, 0
	v_mul_lo_u32 v4, s20, v4
	v_add3_u32 v3, v3, v4, v5
	v_lshlrev_b64 v[2:3], 4, v[2:3]
	v_add_co_u32_e32 v2, vcc, v24, v2
	v_addc_co_u32_e32 v3, vcc, v25, v3, vcc
	global_load_dwordx4 v[2:5], v[2:3], off
	s_waitcnt vmcnt(0)
	v_xor_b32_e32 v5, 0x80000000, v5
.LBB31_18:                              ;   in Loop: Header=BB31_7 Depth=2
	s_or_b64 exec, exec, s[8:9]
.LBB31_19:                              ;   in Loop: Header=BB31_7 Depth=2
	s_or_b64 exec, exec, s[18:19]
	s_waitcnt vmcnt(0)
	ds_write_b128 v18, v[2:5]
	s_waitcnt lgkmcnt(0)
	s_barrier
	s_and_saveexec_b64 s[8:9], s[10:11]
	s_cbranch_execz .LBB31_6
; %bb.20:                               ;   in Loop: Header=BB31_7 Depth=2
	ds_read_b128 v[27:30], v17
	ds_read_b128 v[31:34], v15
	ds_read_b128 v[35:38], v15 offset:16
	ds_read_b128 v[39:42], v15 offset:32
	;; [unrolled: 1-line block ×3, first 2 shown]
	s_waitcnt lgkmcnt(3)
	v_mul_f64 v[6:7], v[29:30], v[33:34]
	v_fma_f64 v[6:7], v[27:28], v[31:32], -v[6:7]
	v_mul_f64 v[27:28], v[27:28], v[33:34]
	v_add_f64 v[6:7], v[6:7], 0
	v_fma_f64 v[27:28], v[29:30], v[31:32], v[27:28]
	v_add_f64 v[31:32], v[27:28], 0
	ds_read_b128 v[27:30], v17 offset:512
	s_waitcnt lgkmcnt(0)
	v_mul_f64 v[33:34], v[29:30], v[37:38]
	v_fma_f64 v[33:34], v[27:28], v[35:36], -v[33:34]
	v_mul_f64 v[27:28], v[27:28], v[37:38]
	v_add_f64 v[6:7], v[6:7], v[33:34]
	v_fma_f64 v[27:28], v[29:30], v[35:36], v[27:28]
	v_add_f64 v[31:32], v[31:32], v[27:28]
	ds_read_b128 v[27:30], v17 offset:1024
	;; [unrolled: 8-line block ×3, first 2 shown]
	s_waitcnt lgkmcnt(0)
	v_mul_f64 v[33:34], v[29:30], v[4:5]
	v_mul_f64 v[4:5], v[27:28], v[4:5]
	v_fma_f64 v[33:34], v[27:28], v[2:3], -v[33:34]
	v_fma_f64 v[2:3], v[29:30], v[2:3], v[4:5]
	v_add_f64 v[6:7], v[6:7], v[33:34]
	v_add_f64 v[31:32], v[31:32], v[2:3]
	ds_read_b128 v[2:5], v17 offset:2048
	ds_read_b128 v[27:30], v15 offset:64
	s_waitcnt lgkmcnt(0)
	v_mul_f64 v[33:34], v[4:5], v[29:30]
	v_fma_f64 v[33:34], v[2:3], v[27:28], -v[33:34]
	v_mul_f64 v[2:3], v[2:3], v[29:30]
	v_add_f64 v[6:7], v[6:7], v[33:34]
	v_fma_f64 v[2:3], v[4:5], v[27:28], v[2:3]
	v_add_f64 v[31:32], v[31:32], v[2:3]
	ds_read_b128 v[2:5], v17 offset:2560
	ds_read_b128 v[27:30], v15 offset:80
	s_waitcnt lgkmcnt(0)
	v_mul_f64 v[33:34], v[4:5], v[29:30]
	v_fma_f64 v[33:34], v[2:3], v[27:28], -v[33:34]
	v_mul_f64 v[2:3], v[2:3], v[29:30]
	v_add_f64 v[6:7], v[6:7], v[33:34]
	v_fma_f64 v[2:3], v[4:5], v[27:28], v[2:3]
	;; [unrolled: 9-line block ×27, first 2 shown]
	v_add_f64 v[31:32], v[31:32], v[2:3]
	ds_read_b128 v[2:5], v17 offset:15872
	ds_read_b128 v[27:30], v15 offset:496
	s_waitcnt lgkmcnt(0)
	v_mul_f64 v[33:34], v[4:5], v[29:30]
	v_fma_f64 v[33:34], v[2:3], v[27:28], -v[33:34]
	v_mul_f64 v[2:3], v[2:3], v[29:30]
	v_fma_f64 v[2:3], v[4:5], v[27:28], v[2:3]
	global_load_dwordx4 v[27:30], v[9:10], off
	v_add_f64 v[4:5], v[6:7], v[33:34]
	v_add_f64 v[6:7], v[31:32], v[2:3]
	v_mul_f64 v[2:3], s[14:15], v[6:7]
	v_fma_f64 v[2:3], s[12:13], v[4:5], -v[2:3]
	v_mul_f64 v[4:5], s[14:15], v[4:5]
	v_fma_f64 v[4:5], s[12:13], v[6:7], v[4:5]
	s_waitcnt vmcnt(0)
	v_add_f64 v[2:3], v[27:28], v[2:3]
	v_add_f64 v[4:5], v[29:30], v[4:5]
	global_store_dwordx4 v[9:10], v[2:5], off
	s_branch .LBB31_6
.LBB31_21:
	s_endpgm
	.section	.rodata,"a",@progbits
	.p2align	6, 0x0
	.amdhsa_kernel _ZL24rocblas_symm_hemm_kernelILb1ELb1ELi32E19rocblas_complex_numIdEPKS1_PS1_EvbiiT2_T3_lllS6_lllT4_llli
		.amdhsa_group_segment_fixed_size 32768
		.amdhsa_private_segment_fixed_size 0
		.amdhsa_kernarg_size 392
		.amdhsa_user_sgpr_count 6
		.amdhsa_user_sgpr_private_segment_buffer 1
		.amdhsa_user_sgpr_dispatch_ptr 0
		.amdhsa_user_sgpr_queue_ptr 0
		.amdhsa_user_sgpr_kernarg_segment_ptr 1
		.amdhsa_user_sgpr_dispatch_id 0
		.amdhsa_user_sgpr_flat_scratch_init 0
		.amdhsa_user_sgpr_private_segment_size 0
		.amdhsa_uses_dynamic_stack 0
		.amdhsa_system_sgpr_private_segment_wavefront_offset 0
		.amdhsa_system_sgpr_workgroup_id_x 1
		.amdhsa_system_sgpr_workgroup_id_y 1
		.amdhsa_system_sgpr_workgroup_id_z 1
		.amdhsa_system_sgpr_workgroup_info 0
		.amdhsa_system_vgpr_workitem_id 1
		.amdhsa_next_free_vgpr 43
		.amdhsa_next_free_sgpr 61
		.amdhsa_reserve_vcc 1
		.amdhsa_reserve_flat_scratch 0
		.amdhsa_float_round_mode_32 0
		.amdhsa_float_round_mode_16_64 0
		.amdhsa_float_denorm_mode_32 3
		.amdhsa_float_denorm_mode_16_64 3
		.amdhsa_dx10_clamp 1
		.amdhsa_ieee_mode 1
		.amdhsa_fp16_overflow 0
		.amdhsa_exception_fp_ieee_invalid_op 0
		.amdhsa_exception_fp_denorm_src 0
		.amdhsa_exception_fp_ieee_div_zero 0
		.amdhsa_exception_fp_ieee_overflow 0
		.amdhsa_exception_fp_ieee_underflow 0
		.amdhsa_exception_fp_ieee_inexact 0
		.amdhsa_exception_int_div_zero 0
	.end_amdhsa_kernel
	.section	.text._ZL24rocblas_symm_hemm_kernelILb1ELb1ELi32E19rocblas_complex_numIdEPKS1_PS1_EvbiiT2_T3_lllS6_lllT4_llli,"axG",@progbits,_ZL24rocblas_symm_hemm_kernelILb1ELb1ELi32E19rocblas_complex_numIdEPKS1_PS1_EvbiiT2_T3_lllS6_lllT4_llli,comdat
.Lfunc_end31:
	.size	_ZL24rocblas_symm_hemm_kernelILb1ELb1ELi32E19rocblas_complex_numIdEPKS1_PS1_EvbiiT2_T3_lllS6_lllT4_llli, .Lfunc_end31-_ZL24rocblas_symm_hemm_kernelILb1ELb1ELi32E19rocblas_complex_numIdEPKS1_PS1_EvbiiT2_T3_lllS6_lllT4_llli
                                        ; -- End function
	.set _ZL24rocblas_symm_hemm_kernelILb1ELb1ELi32E19rocblas_complex_numIdEPKS1_PS1_EvbiiT2_T3_lllS6_lllT4_llli.num_vgpr, 43
	.set _ZL24rocblas_symm_hemm_kernelILb1ELb1ELi32E19rocblas_complex_numIdEPKS1_PS1_EvbiiT2_T3_lllS6_lllT4_llli.num_agpr, 0
	.set _ZL24rocblas_symm_hemm_kernelILb1ELb1ELi32E19rocblas_complex_numIdEPKS1_PS1_EvbiiT2_T3_lllS6_lllT4_llli.numbered_sgpr, 44
	.set _ZL24rocblas_symm_hemm_kernelILb1ELb1ELi32E19rocblas_complex_numIdEPKS1_PS1_EvbiiT2_T3_lllS6_lllT4_llli.num_named_barrier, 0
	.set _ZL24rocblas_symm_hemm_kernelILb1ELb1ELi32E19rocblas_complex_numIdEPKS1_PS1_EvbiiT2_T3_lllS6_lllT4_llli.private_seg_size, 0
	.set _ZL24rocblas_symm_hemm_kernelILb1ELb1ELi32E19rocblas_complex_numIdEPKS1_PS1_EvbiiT2_T3_lllS6_lllT4_llli.uses_vcc, 1
	.set _ZL24rocblas_symm_hemm_kernelILb1ELb1ELi32E19rocblas_complex_numIdEPKS1_PS1_EvbiiT2_T3_lllS6_lllT4_llli.uses_flat_scratch, 0
	.set _ZL24rocblas_symm_hemm_kernelILb1ELb1ELi32E19rocblas_complex_numIdEPKS1_PS1_EvbiiT2_T3_lllS6_lllT4_llli.has_dyn_sized_stack, 0
	.set _ZL24rocblas_symm_hemm_kernelILb1ELb1ELi32E19rocblas_complex_numIdEPKS1_PS1_EvbiiT2_T3_lllS6_lllT4_llli.has_recursion, 0
	.set _ZL24rocblas_symm_hemm_kernelILb1ELb1ELi32E19rocblas_complex_numIdEPKS1_PS1_EvbiiT2_T3_lllS6_lllT4_llli.has_indirect_call, 0
	.section	.AMDGPU.csdata,"",@progbits
; Kernel info:
; codeLenInByte = 3224
; TotalNumSgprs: 48
; NumVgprs: 43
; ScratchSize: 0
; MemoryBound: 1
; FloatMode: 240
; IeeeMode: 1
; LDSByteSize: 32768 bytes/workgroup (compile time only)
; SGPRBlocks: 8
; VGPRBlocks: 10
; NumSGPRsForWavesPerEU: 65
; NumVGPRsForWavesPerEU: 43
; Occupancy: 5
; WaveLimiterHint : 0
; COMPUTE_PGM_RSRC2:SCRATCH_EN: 0
; COMPUTE_PGM_RSRC2:USER_SGPR: 6
; COMPUTE_PGM_RSRC2:TRAP_HANDLER: 0
; COMPUTE_PGM_RSRC2:TGID_X_EN: 1
; COMPUTE_PGM_RSRC2:TGID_Y_EN: 1
; COMPUTE_PGM_RSRC2:TGID_Z_EN: 1
; COMPUTE_PGM_RSRC2:TIDIG_COMP_CNT: 1
	.section	.text._ZL25rocblas_symm_scale_kernelILi128ELi8EPKfPKPfEviiT1_T2_llli,"axG",@progbits,_ZL25rocblas_symm_scale_kernelILi128ELi8EPKfPKPfEviiT1_T2_llli,comdat
	.globl	_ZL25rocblas_symm_scale_kernelILi128ELi8EPKfPKPfEviiT1_T2_llli ; -- Begin function _ZL25rocblas_symm_scale_kernelILi128ELi8EPKfPKPfEviiT1_T2_llli
	.p2align	8
	.type	_ZL25rocblas_symm_scale_kernelILi128ELi8EPKfPKPfEviiT1_T2_llli,@function
_ZL25rocblas_symm_scale_kernelILi128ELi8EPKfPKPfEviiT1_T2_llli: ; @_ZL25rocblas_symm_scale_kernelILi128ELi8EPKfPKPfEviiT1_T2_llli
; %bb.0:
	s_load_dwordx8 s[12:19], s[4:5], 0x8
	s_waitcnt lgkmcnt(0)
	s_load_dword s10, s[12:13], 0x0
	s_waitcnt lgkmcnt(0)
	v_cmp_eq_f32_e64 s[0:1], s10, 1.0
	s_and_b64 vcc, exec, s[0:1]
	s_cbranch_vccnz .LBB32_7
; %bb.1:
	s_load_dwordx2 s[0:1], s[4:5], 0x0
	v_lshl_add_u32 v2, s6, 7, v0
	v_lshl_add_u32 v0, s7, 3, v1
	v_mov_b32_e32 v1, 0
	s_waitcnt lgkmcnt(0)
	s_ashr_i32 s3, s1, 31
	s_mov_b32 s2, s1
	v_cmp_gt_i64_e32 vcc, s[2:3], v[0:1]
	v_cmp_gt_u32_e64 s[0:1], s0, v2
	s_and_b64 s[0:1], s[0:1], vcc
	s_and_saveexec_b64 s[6:7], s[0:1]
	s_cbranch_execz .LBB32_7
; %bb.2:
	v_mad_u64_u32 v[4:5], s[6:7], s18, v0, 0
	s_load_dword s6, s[4:5], 0x3c
	s_mov_b32 s9, 0
	v_mov_b32_e32 v3, v5
	v_mad_u64_u32 v[5:6], s[4:5], s19, v0, v[3:4]
	s_lshl_b64 s[0:1], s[8:9], 3
	s_add_u32 s0, s14, s0
	s_addc_u32 s1, s15, s1
	v_lshlrev_b64 v[4:5], 2, v[4:5]
	s_load_dwordx2 s[0:1], s[0:1], 0x0
	v_mov_b32_e32 v3, v1
	s_lshl_b64 s[4:5], s[16:17], 2
	v_mov_b32_e32 v6, s5
	v_add_co_u32_e32 v4, vcc, s4, v4
	v_lshlrev_b64 v[2:3], 2, v[2:3]
	v_addc_co_u32_e32 v5, vcc, v5, v6, vcc
	v_add_co_u32_e32 v2, vcc, v4, v2
	s_waitcnt lgkmcnt(0)
	s_lshl_b32 s8, s6, 3
	v_addc_co_u32_e32 v3, vcc, v5, v3, vcc
	v_mov_b32_e32 v4, s1
	v_add_co_u32_e32 v2, vcc, s0, v2
	s_mul_i32 s0, s19, s8
	s_mul_hi_u32 s1, s18, s8
	s_add_i32 s1, s1, s0
	s_mul_i32 s0, s18, s8
	s_lshl_b64 s[4:5], s[0:1], 2
	v_cmp_neq_f32_e64 s[0:1], s10, 0
	v_addc_co_u32_e32 v3, vcc, v4, v3, vcc
	v_cndmask_b32_e64 v4, 0, 1, s[0:1]
	s_mov_b64 s[6:7], 0
	v_cmp_ne_u32_e64 s[0:1], 1, v4
	v_mov_b32_e32 v4, s5
	s_branch .LBB32_5
.LBB32_3:                               ;   in Loop: Header=BB32_5 Depth=1
	flat_load_dword v5, v[2:3]
	s_waitcnt vmcnt(0) lgkmcnt(0)
	v_mul_f32_e32 v5, s10, v5
.LBB32_4:                               ;   in Loop: Header=BB32_5 Depth=1
	v_add_co_u32_e32 v0, vcc, s8, v0
	v_addc_co_u32_e32 v1, vcc, 0, v1, vcc
	v_cmp_le_i64_e32 vcc, s[2:3], v[0:1]
	flat_store_dword v[2:3], v5
	s_or_b64 s[6:7], vcc, s[6:7]
	v_add_co_u32_e32 v2, vcc, s4, v2
	v_addc_co_u32_e32 v3, vcc, v3, v4, vcc
	s_andn2_b64 exec, exec, s[6:7]
	s_cbranch_execz .LBB32_7
.LBB32_5:                               ; =>This Inner Loop Header: Depth=1
	s_and_b64 vcc, exec, s[0:1]
	s_cbranch_vccz .LBB32_3
; %bb.6:                                ;   in Loop: Header=BB32_5 Depth=1
	v_mov_b32_e32 v5, 0
	s_branch .LBB32_4
.LBB32_7:
	s_endpgm
	.section	.rodata,"a",@progbits
	.p2align	6, 0x0
	.amdhsa_kernel _ZL25rocblas_symm_scale_kernelILi128ELi8EPKfPKPfEviiT1_T2_llli
		.amdhsa_group_segment_fixed_size 0
		.amdhsa_private_segment_fixed_size 0
		.amdhsa_kernarg_size 312
		.amdhsa_user_sgpr_count 6
		.amdhsa_user_sgpr_private_segment_buffer 1
		.amdhsa_user_sgpr_dispatch_ptr 0
		.amdhsa_user_sgpr_queue_ptr 0
		.amdhsa_user_sgpr_kernarg_segment_ptr 1
		.amdhsa_user_sgpr_dispatch_id 0
		.amdhsa_user_sgpr_flat_scratch_init 0
		.amdhsa_user_sgpr_private_segment_size 0
		.amdhsa_uses_dynamic_stack 0
		.amdhsa_system_sgpr_private_segment_wavefront_offset 0
		.amdhsa_system_sgpr_workgroup_id_x 1
		.amdhsa_system_sgpr_workgroup_id_y 1
		.amdhsa_system_sgpr_workgroup_id_z 1
		.amdhsa_system_sgpr_workgroup_info 0
		.amdhsa_system_vgpr_workitem_id 1
		.amdhsa_next_free_vgpr 7
		.amdhsa_next_free_sgpr 20
		.amdhsa_reserve_vcc 1
		.amdhsa_reserve_flat_scratch 0
		.amdhsa_float_round_mode_32 0
		.amdhsa_float_round_mode_16_64 0
		.amdhsa_float_denorm_mode_32 3
		.amdhsa_float_denorm_mode_16_64 3
		.amdhsa_dx10_clamp 1
		.amdhsa_ieee_mode 1
		.amdhsa_fp16_overflow 0
		.amdhsa_exception_fp_ieee_invalid_op 0
		.amdhsa_exception_fp_denorm_src 0
		.amdhsa_exception_fp_ieee_div_zero 0
		.amdhsa_exception_fp_ieee_overflow 0
		.amdhsa_exception_fp_ieee_underflow 0
		.amdhsa_exception_fp_ieee_inexact 0
		.amdhsa_exception_int_div_zero 0
	.end_amdhsa_kernel
	.section	.text._ZL25rocblas_symm_scale_kernelILi128ELi8EPKfPKPfEviiT1_T2_llli,"axG",@progbits,_ZL25rocblas_symm_scale_kernelILi128ELi8EPKfPKPfEviiT1_T2_llli,comdat
.Lfunc_end32:
	.size	_ZL25rocblas_symm_scale_kernelILi128ELi8EPKfPKPfEviiT1_T2_llli, .Lfunc_end32-_ZL25rocblas_symm_scale_kernelILi128ELi8EPKfPKPfEviiT1_T2_llli
                                        ; -- End function
	.set _ZL25rocblas_symm_scale_kernelILi128ELi8EPKfPKPfEviiT1_T2_llli.num_vgpr, 7
	.set _ZL25rocblas_symm_scale_kernelILi128ELi8EPKfPKPfEviiT1_T2_llli.num_agpr, 0
	.set _ZL25rocblas_symm_scale_kernelILi128ELi8EPKfPKPfEviiT1_T2_llli.numbered_sgpr, 20
	.set _ZL25rocblas_symm_scale_kernelILi128ELi8EPKfPKPfEviiT1_T2_llli.num_named_barrier, 0
	.set _ZL25rocblas_symm_scale_kernelILi128ELi8EPKfPKPfEviiT1_T2_llli.private_seg_size, 0
	.set _ZL25rocblas_symm_scale_kernelILi128ELi8EPKfPKPfEviiT1_T2_llli.uses_vcc, 1
	.set _ZL25rocblas_symm_scale_kernelILi128ELi8EPKfPKPfEviiT1_T2_llli.uses_flat_scratch, 0
	.set _ZL25rocblas_symm_scale_kernelILi128ELi8EPKfPKPfEviiT1_T2_llli.has_dyn_sized_stack, 0
	.set _ZL25rocblas_symm_scale_kernelILi128ELi8EPKfPKPfEviiT1_T2_llli.has_recursion, 0
	.set _ZL25rocblas_symm_scale_kernelILi128ELi8EPKfPKPfEviiT1_T2_llli.has_indirect_call, 0
	.section	.AMDGPU.csdata,"",@progbits
; Kernel info:
; codeLenInByte = 352
; TotalNumSgprs: 24
; NumVgprs: 7
; ScratchSize: 0
; MemoryBound: 0
; FloatMode: 240
; IeeeMode: 1
; LDSByteSize: 0 bytes/workgroup (compile time only)
; SGPRBlocks: 2
; VGPRBlocks: 1
; NumSGPRsForWavesPerEU: 24
; NumVGPRsForWavesPerEU: 7
; Occupancy: 10
; WaveLimiterHint : 0
; COMPUTE_PGM_RSRC2:SCRATCH_EN: 0
; COMPUTE_PGM_RSRC2:USER_SGPR: 6
; COMPUTE_PGM_RSRC2:TRAP_HANDLER: 0
; COMPUTE_PGM_RSRC2:TGID_X_EN: 1
; COMPUTE_PGM_RSRC2:TGID_Y_EN: 1
; COMPUTE_PGM_RSRC2:TGID_Z_EN: 1
; COMPUTE_PGM_RSRC2:TIDIG_COMP_CNT: 1
	.section	.text._ZL24rocblas_symm_hemm_kernelILb0ELb0ELi32EPKfPKS1_PKPfEvbiiT2_T3_lllS8_lllT4_llli,"axG",@progbits,_ZL24rocblas_symm_hemm_kernelILb0ELb0ELi32EPKfPKS1_PKPfEvbiiT2_T3_lllS8_lllT4_llli,comdat
	.globl	_ZL24rocblas_symm_hemm_kernelILb0ELb0ELi32EPKfPKS1_PKPfEvbiiT2_T3_lllS8_lllT4_llli ; -- Begin function _ZL24rocblas_symm_hemm_kernelILb0ELb0ELi32EPKfPKS1_PKPfEvbiiT2_T3_lllS8_lllT4_llli
	.p2align	8
	.type	_ZL24rocblas_symm_hemm_kernelILb0ELb0ELi32EPKfPKS1_PKPfEvbiiT2_T3_lllS8_lllT4_llli,@function
_ZL24rocblas_symm_hemm_kernelILb0ELb0ELi32EPKfPKS1_PKPfEvbiiT2_T3_lllS8_lllT4_llli: ; @_ZL24rocblas_symm_hemm_kernelILb0ELb0ELi32EPKfPKS1_PKPfEvbiiT2_T3_lllS8_lllT4_llli
; %bb.0:
	s_load_dwordx8 s[12:19], s[4:5], 0x10
	s_waitcnt lgkmcnt(0)
	s_load_dword s24, s[12:13], 0x0
	s_waitcnt lgkmcnt(0)
	v_cmp_eq_f32_e64 s[0:1], s24, 0
	s_and_b64 vcc, exec, s[0:1]
	s_cbranch_vccnz .LBB33_13
; %bb.1:
	s_load_dwordx4 s[20:23], s[4:5], 0x0
	s_waitcnt lgkmcnt(0)
	s_add_i32 s0, s22, -1
	s_ashr_i32 s1, s0, 31
	s_lshr_b32 s1, s1, 27
	s_add_i32 s0, s0, s1
	s_ashr_i32 s23, s0, 5
	s_cmp_gt_i32 s7, s23
	s_cbranch_scc1 .LBB33_13
; %bb.2:
	s_mov_b32 s9, 0
	s_lshl_b64 s[8:9], s[8:9], 3
	s_add_u32 s12, s14, s8
	s_addc_u32 s13, s15, s9
	s_load_dwordx2 s[14:15], s[12:13], 0x0
	s_load_dwordx4 s[0:3], s[4:5], 0x38
	s_load_dwordx2 s[10:11], s[4:5], 0x48
	s_lshl_b64 s[12:13], s[16:17], 2
	v_lshl_add_u32 v2, s6, 5, v0
	s_waitcnt lgkmcnt(0)
	s_add_u32 s25, s14, s12
	s_addc_u32 s26, s15, s13
	s_add_u32 s0, s0, s8
	s_addc_u32 s1, s1, s9
	s_load_dwordx2 s[14:15], s[0:1], 0x0
	s_load_dwordx4 s[28:31], s[4:5], 0x58
	s_load_dwordx2 s[12:13], s[4:5], 0x68
	s_lshl_b64 s[0:1], s[2:3], 2
	v_lshlrev_b32_e32 v7, 7, v0
	s_waitcnt lgkmcnt(0)
	s_add_u32 s6, s14, s0
	s_addc_u32 s27, s15, s1
	s_add_u32 s0, s28, s8
	s_addc_u32 s1, s29, s9
	s_load_dwordx2 s[2:3], s[0:1], 0x0
	s_bitcmp1_b32 s20, 0
	s_cselect_b64 s[0:1], -1, 0
	s_lshl_b64 s[8:9], s[30:31], 2
	v_lshlrev_b32_e32 v3, 2, v1
	s_waitcnt lgkmcnt(0)
	s_add_u32 s8, s2, s8
	s_addc_u32 s9, s3, s9
	v_add_u32_e32 v8, v7, v3
	v_or_b32_e32 v9, 0x1000, v3
	v_ashrrev_i32_e32 v3, 31, v2
	s_load_dword s20, s[4:5], 0x84
	s_cmp_gt_i32 s21, 0
	v_lshlrev_b64 v[3:4], 2, v[2:3]
	s_cselect_b64 s[4:5], -1, 0
	v_mov_b32_e32 v5, s9
	v_add_co_u32_e32 v11, vcc, s8, v3
	v_cndmask_b32_e64 v3, 0, 1, s[4:5]
	v_add_u32_e32 v10, v9, v7
	v_cmp_gt_i32_e64 s[2:3], s21, v2
	v_addc_co_u32_e32 v12, vcc, v5, v4, vcc
	v_cmp_ne_u32_e64 s[4:5], 1, v3
	v_add_u32_e32 v13, 0x400, v9
	v_add_u32_e32 v14, 0x800, v9
	;; [unrolled: 1-line block ×3, first 2 shown]
	s_branch .LBB33_4
.LBB33_3:                               ;   in Loop: Header=BB33_4 Depth=1
	s_waitcnt lgkmcnt(0)
	s_add_i32 s7, s7, s20
	s_cmp_gt_i32 s7, s23
	s_cbranch_scc1 .LBB33_13
.LBB33_4:                               ; =>This Loop Header: Depth=1
                                        ;     Child Loop BB33_7 Depth 2
	s_and_b64 vcc, exec, s[4:5]
	s_cbranch_vccnz .LBB33_3
; %bb.5:                                ;   in Loop: Header=BB33_4 Depth=1
	v_lshl_add_u32 v5, s7, 5, v1
	v_ashrrev_i32_e32 v6, 31, v5
	v_mul_lo_u32 v16, s10, v6
	v_mul_lo_u32 v17, s11, v5
	v_mad_u64_u32 v[3:4], s[8:9], s10, v5, 0
	v_cmp_gt_i32_e32 vcc, s22, v5
	v_mul_lo_u32 v18, s12, v6
	v_mul_lo_u32 v19, s13, v5
	v_mad_u64_u32 v[5:6], s[8:9], s12, v5, 0
	v_add3_u32 v4, v4, v16, v17
	v_lshlrev_b64 v[3:4], 2, v[3:4]
	v_mov_b32_e32 v17, s27
	v_add_co_u32_e64 v16, s[8:9], s6, v3
	v_add3_u32 v6, v6, v18, v19
	v_addc_co_u32_e64 v17, s[8:9], v17, v4, s[8:9]
	v_lshlrev_b64 v[3:4], 2, v[5:6]
	s_and_b64 s[14:15], s[2:3], vcc
	v_add_co_u32_e64 v3, s[8:9], v11, v3
	v_addc_co_u32_e64 v4, s[8:9], v12, v4, s[8:9]
	s_mov_b32 s28, 0
	s_branch .LBB33_7
.LBB33_6:                               ;   in Loop: Header=BB33_7 Depth=2
	s_or_b64 exec, exec, s[8:9]
	s_add_i32 s28, s28, 32
	s_cmp_ge_i32 s28, s21
	s_waitcnt vmcnt(0) lgkmcnt(0)
	s_barrier
	s_cbranch_scc1 .LBB33_3
.LBB33_7:                               ;   Parent Loop BB33_4 Depth=1
                                        ; =>  This Inner Loop Header: Depth=2
	v_add_u32_e32 v6, s28, v1
	v_cndmask_b32_e64 v5, v6, v2, s[0:1]
	v_cndmask_b32_e64 v18, v2, v6, s[0:1]
	v_cmp_gt_i32_e64 s[8:9], v5, v18
	v_cndmask_b32_e64 v5, v2, v6, s[8:9]
	v_cndmask_b32_e64 v6, v6, v2, s[8:9]
	v_max_i32_e32 v18, v5, v6
	v_cmp_gt_i32_e64 s[8:9], s21, v18
	v_mov_b32_e32 v18, 0
	v_mov_b32_e32 v19, 0
	s_and_saveexec_b64 s[16:17], s[8:9]
	s_cbranch_execz .LBB33_9
; %bb.8:                                ;   in Loop: Header=BB33_7 Depth=2
	v_ashrrev_i32_e32 v21, 31, v6
	v_mul_lo_u32 v22, s19, v6
	v_mad_u64_u32 v[19:20], s[8:9], s18, v6, 0
	v_mul_lo_u32 v6, s18, v21
	v_mov_b32_e32 v21, s26
	v_add3_u32 v20, v20, v6, v22
	v_lshlrev_b64 v[19:20], 2, v[19:20]
	v_ashrrev_i32_e32 v6, 31, v5
	v_add_co_u32_e64 v19, s[8:9], s25, v19
	v_lshlrev_b64 v[5:6], 2, v[5:6]
	v_addc_co_u32_e64 v20, s[8:9], v21, v20, s[8:9]
	v_add_co_u32_e64 v5, s[8:9], v19, v5
	v_addc_co_u32_e64 v6, s[8:9], v20, v6, s[8:9]
	flat_load_dword v19, v[5:6]
.LBB33_9:                               ;   in Loop: Header=BB33_7 Depth=2
	s_or_b64 exec, exec, s[16:17]
	v_add_u32_e32 v5, s28, v0
	v_cmp_gt_i32_e64 s[8:9], s21, v5
	s_and_b64 s[8:9], s[8:9], vcc
	s_waitcnt vmcnt(0) lgkmcnt(0)
	ds_write_b32 v8, v19
	s_and_saveexec_b64 s[16:17], s[8:9]
	s_cbranch_execz .LBB33_11
; %bb.10:                               ;   in Loop: Header=BB33_7 Depth=2
	v_ashrrev_i32_e32 v6, 31, v5
	v_lshlrev_b64 v[5:6], 2, v[5:6]
	v_add_co_u32_e64 v5, s[8:9], v16, v5
	v_addc_co_u32_e64 v6, s[8:9], v17, v6, s[8:9]
	flat_load_dword v18, v[5:6]
.LBB33_11:                              ;   in Loop: Header=BB33_7 Depth=2
	s_or_b64 exec, exec, s[16:17]
	s_waitcnt vmcnt(0) lgkmcnt(0)
	ds_write_b32 v10, v18
	s_waitcnt lgkmcnt(0)
	s_barrier
	s_and_saveexec_b64 s[8:9], s[14:15]
	s_cbranch_execz .LBB33_6
; %bb.12:                               ;   in Loop: Header=BB33_7 Depth=2
	flat_load_dword v28, v[3:4]
	ds_read_b128 v[18:21], v7
	ds_read2_b32 v[5:6], v9 offset1:32
	ds_read2_b32 v[26:27], v9 offset0:64 offset1:96
	ds_read_b128 v[22:25], v7 offset:16
	s_waitcnt lgkmcnt(0)
	v_fma_f32 v29, v18, v5, 0
	v_fmac_f32_e32 v29, v19, v6
	ds_read2_b32 v[5:6], v9 offset0:128 offset1:160
	v_fmac_f32_e32 v29, v20, v26
	v_fmac_f32_e32 v29, v21, v27
	ds_read2_b32 v[26:27], v9 offset0:192 offset1:224
	ds_read_b128 v[18:21], v7 offset:32
	s_waitcnt lgkmcnt(0)
	v_fmac_f32_e32 v29, v22, v5
	v_fmac_f32_e32 v29, v23, v6
	ds_read2_b32 v[5:6], v13 offset1:32
	v_fmac_f32_e32 v29, v24, v26
	v_fmac_f32_e32 v29, v25, v27
	ds_read_b128 v[22:25], v7 offset:48
	ds_read2_b32 v[26:27], v13 offset0:64 offset1:96
	s_waitcnt lgkmcnt(0)
	v_fmac_f32_e32 v29, v18, v5
	v_fmac_f32_e32 v29, v19, v6
	ds_read2_b32 v[5:6], v13 offset0:128 offset1:160
	v_fmac_f32_e32 v29, v20, v26
	v_fmac_f32_e32 v29, v21, v27
	ds_read2_b32 v[26:27], v13 offset0:192 offset1:224
	s_waitcnt lgkmcnt(0)
	v_fmac_f32_e32 v29, v22, v5
	v_fmac_f32_e32 v29, v23, v6
	ds_read_b128 v[18:21], v7 offset:64
	ds_read2_b32 v[5:6], v14 offset1:32
	v_fmac_f32_e32 v29, v24, v26
	v_fmac_f32_e32 v29, v25, v27
	ds_read2_b32 v[26:27], v14 offset0:64 offset1:96
	ds_read_b128 v[22:25], v7 offset:80
	s_waitcnt lgkmcnt(0)
	v_fmac_f32_e32 v29, v18, v5
	v_fmac_f32_e32 v29, v19, v6
	ds_read2_b32 v[5:6], v14 offset0:128 offset1:160
	v_fmac_f32_e32 v29, v20, v26
	v_fmac_f32_e32 v29, v21, v27
	ds_read2_b32 v[26:27], v14 offset0:192 offset1:224
	s_waitcnt lgkmcnt(0)
	v_fmac_f32_e32 v29, v22, v5
	v_fmac_f32_e32 v29, v23, v6
	ds_read_b128 v[18:21], v7 offset:96
	ds_read2_b32 v[5:6], v15 offset1:32
	v_fmac_f32_e32 v29, v24, v26
	v_fmac_f32_e32 v29, v25, v27
	ds_read2_b32 v[26:27], v15 offset0:64 offset1:96
	ds_read_b128 v[22:25], v7 offset:112
	s_waitcnt lgkmcnt(0)
	v_fmac_f32_e32 v29, v18, v5
	v_fmac_f32_e32 v29, v19, v6
	ds_read2_b32 v[5:6], v15 offset0:128 offset1:160
	ds_read2_b32 v[18:19], v15 offset0:192 offset1:224
	v_fmac_f32_e32 v29, v20, v26
	v_fmac_f32_e32 v29, v21, v27
	s_waitcnt lgkmcnt(0)
	v_fmac_f32_e32 v29, v22, v5
	v_fmac_f32_e32 v29, v23, v6
	;; [unrolled: 1-line block ×4, first 2 shown]
	s_waitcnt vmcnt(0)
	v_fmac_f32_e32 v28, s24, v29
	flat_store_dword v[3:4], v28
	s_branch .LBB33_6
.LBB33_13:
	s_endpgm
	.section	.rodata,"a",@progbits
	.p2align	6, 0x0
	.amdhsa_kernel _ZL24rocblas_symm_hemm_kernelILb0ELb0ELi32EPKfPKS1_PKPfEvbiiT2_T3_lllS8_lllT4_llli
		.amdhsa_group_segment_fixed_size 8192
		.amdhsa_private_segment_fixed_size 0
		.amdhsa_kernarg_size 384
		.amdhsa_user_sgpr_count 6
		.amdhsa_user_sgpr_private_segment_buffer 1
		.amdhsa_user_sgpr_dispatch_ptr 0
		.amdhsa_user_sgpr_queue_ptr 0
		.amdhsa_user_sgpr_kernarg_segment_ptr 1
		.amdhsa_user_sgpr_dispatch_id 0
		.amdhsa_user_sgpr_flat_scratch_init 0
		.amdhsa_user_sgpr_private_segment_size 0
		.amdhsa_uses_dynamic_stack 0
		.amdhsa_system_sgpr_private_segment_wavefront_offset 0
		.amdhsa_system_sgpr_workgroup_id_x 1
		.amdhsa_system_sgpr_workgroup_id_y 1
		.amdhsa_system_sgpr_workgroup_id_z 1
		.amdhsa_system_sgpr_workgroup_info 0
		.amdhsa_system_vgpr_workitem_id 1
		.amdhsa_next_free_vgpr 30
		.amdhsa_next_free_sgpr 61
		.amdhsa_reserve_vcc 1
		.amdhsa_reserve_flat_scratch 0
		.amdhsa_float_round_mode_32 0
		.amdhsa_float_round_mode_16_64 0
		.amdhsa_float_denorm_mode_32 3
		.amdhsa_float_denorm_mode_16_64 3
		.amdhsa_dx10_clamp 1
		.amdhsa_ieee_mode 1
		.amdhsa_fp16_overflow 0
		.amdhsa_exception_fp_ieee_invalid_op 0
		.amdhsa_exception_fp_denorm_src 0
		.amdhsa_exception_fp_ieee_div_zero 0
		.amdhsa_exception_fp_ieee_overflow 0
		.amdhsa_exception_fp_ieee_underflow 0
		.amdhsa_exception_fp_ieee_inexact 0
		.amdhsa_exception_int_div_zero 0
	.end_amdhsa_kernel
	.section	.text._ZL24rocblas_symm_hemm_kernelILb0ELb0ELi32EPKfPKS1_PKPfEvbiiT2_T3_lllS8_lllT4_llli,"axG",@progbits,_ZL24rocblas_symm_hemm_kernelILb0ELb0ELi32EPKfPKS1_PKPfEvbiiT2_T3_lllS8_lllT4_llli,comdat
.Lfunc_end33:
	.size	_ZL24rocblas_symm_hemm_kernelILb0ELb0ELi32EPKfPKS1_PKPfEvbiiT2_T3_lllS8_lllT4_llli, .Lfunc_end33-_ZL24rocblas_symm_hemm_kernelILb0ELb0ELi32EPKfPKS1_PKPfEvbiiT2_T3_lllS8_lllT4_llli
                                        ; -- End function
	.set _ZL24rocblas_symm_hemm_kernelILb0ELb0ELi32EPKfPKS1_PKPfEvbiiT2_T3_lllS8_lllT4_llli.num_vgpr, 30
	.set _ZL24rocblas_symm_hemm_kernelILb0ELb0ELi32EPKfPKS1_PKPfEvbiiT2_T3_lllS8_lllT4_llli.num_agpr, 0
	.set _ZL24rocblas_symm_hemm_kernelILb0ELb0ELi32EPKfPKS1_PKPfEvbiiT2_T3_lllS8_lllT4_llli.numbered_sgpr, 32
	.set _ZL24rocblas_symm_hemm_kernelILb0ELb0ELi32EPKfPKS1_PKPfEvbiiT2_T3_lllS8_lllT4_llli.num_named_barrier, 0
	.set _ZL24rocblas_symm_hemm_kernelILb0ELb0ELi32EPKfPKS1_PKPfEvbiiT2_T3_lllS8_lllT4_llli.private_seg_size, 0
	.set _ZL24rocblas_symm_hemm_kernelILb0ELb0ELi32EPKfPKS1_PKPfEvbiiT2_T3_lllS8_lllT4_llli.uses_vcc, 1
	.set _ZL24rocblas_symm_hemm_kernelILb0ELb0ELi32EPKfPKS1_PKPfEvbiiT2_T3_lllS8_lllT4_llli.uses_flat_scratch, 0
	.set _ZL24rocblas_symm_hemm_kernelILb0ELb0ELi32EPKfPKS1_PKPfEvbiiT2_T3_lllS8_lllT4_llli.has_dyn_sized_stack, 0
	.set _ZL24rocblas_symm_hemm_kernelILb0ELb0ELi32EPKfPKS1_PKPfEvbiiT2_T3_lllS8_lllT4_llli.has_recursion, 0
	.set _ZL24rocblas_symm_hemm_kernelILb0ELb0ELi32EPKfPKS1_PKPfEvbiiT2_T3_lllS8_lllT4_llli.has_indirect_call, 0
	.section	.AMDGPU.csdata,"",@progbits
; Kernel info:
; codeLenInByte = 1208
; TotalNumSgprs: 36
; NumVgprs: 30
; ScratchSize: 0
; MemoryBound: 0
; FloatMode: 240
; IeeeMode: 1
; LDSByteSize: 8192 bytes/workgroup (compile time only)
; SGPRBlocks: 8
; VGPRBlocks: 7
; NumSGPRsForWavesPerEU: 65
; NumVGPRsForWavesPerEU: 30
; Occupancy: 8
; WaveLimiterHint : 1
; COMPUTE_PGM_RSRC2:SCRATCH_EN: 0
; COMPUTE_PGM_RSRC2:USER_SGPR: 6
; COMPUTE_PGM_RSRC2:TRAP_HANDLER: 0
; COMPUTE_PGM_RSRC2:TGID_X_EN: 1
; COMPUTE_PGM_RSRC2:TGID_Y_EN: 1
; COMPUTE_PGM_RSRC2:TGID_Z_EN: 1
; COMPUTE_PGM_RSRC2:TIDIG_COMP_CNT: 1
	.section	.text._ZL24rocblas_symm_hemm_kernelILb0ELb1ELi32EPKfPKS1_PKPfEvbiiT2_T3_lllS8_lllT4_llli,"axG",@progbits,_ZL24rocblas_symm_hemm_kernelILb0ELb1ELi32EPKfPKS1_PKPfEvbiiT2_T3_lllS8_lllT4_llli,comdat
	.globl	_ZL24rocblas_symm_hemm_kernelILb0ELb1ELi32EPKfPKS1_PKPfEvbiiT2_T3_lllS8_lllT4_llli ; -- Begin function _ZL24rocblas_symm_hemm_kernelILb0ELb1ELi32EPKfPKS1_PKPfEvbiiT2_T3_lllS8_lllT4_llli
	.p2align	8
	.type	_ZL24rocblas_symm_hemm_kernelILb0ELb1ELi32EPKfPKS1_PKPfEvbiiT2_T3_lllS8_lllT4_llli,@function
_ZL24rocblas_symm_hemm_kernelILb0ELb1ELi32EPKfPKS1_PKPfEvbiiT2_T3_lllS8_lllT4_llli: ; @_ZL24rocblas_symm_hemm_kernelILb0ELb1ELi32EPKfPKS1_PKPfEvbiiT2_T3_lllS8_lllT4_llli
; %bb.0:
	s_load_dwordx8 s[12:19], s[4:5], 0x10
	s_waitcnt lgkmcnt(0)
	s_load_dword s24, s[12:13], 0x0
	s_waitcnt lgkmcnt(0)
	v_cmp_eq_f32_e64 s[0:1], s24, 0
	s_and_b64 vcc, exec, s[0:1]
	s_cbranch_vccnz .LBB34_13
; %bb.1:
	s_load_dwordx4 s[20:23], s[4:5], 0x0
	s_waitcnt lgkmcnt(0)
	s_add_i32 s0, s22, -1
	s_ashr_i32 s1, s0, 31
	s_lshr_b32 s1, s1, 27
	s_add_i32 s0, s0, s1
	s_ashr_i32 s23, s0, 5
	s_cmp_gt_i32 s7, s23
	s_cbranch_scc1 .LBB34_13
; %bb.2:
	s_mov_b32 s9, 0
	s_lshl_b64 s[26:27], s[8:9], 3
	s_add_u32 s28, s14, s26
	s_addc_u32 s29, s15, s27
	s_load_dwordx2 s[30:31], s[28:29], 0x0
	s_load_dwordx4 s[0:3], s[4:5], 0x38
	s_load_dwordx2 s[8:9], s[4:5], 0x48
	s_load_dwordx4 s[12:15], s[4:5], 0x58
	s_load_dwordx2 s[10:11], s[4:5], 0x68
	s_lshl_b64 s[16:17], s[16:17], 2
	s_waitcnt lgkmcnt(0)
	s_add_u32 s16, s30, s16
	s_addc_u32 s17, s31, s17
	s_add_u32 s0, s0, s26
	s_addc_u32 s1, s1, s27
	;; [unrolled: 2-line block ×3, first 2 shown]
	s_load_dwordx2 s[26:27], s[12:13], 0x0
	s_load_dwordx2 s[28:29], s[0:1], 0x0
	s_bitcmp1_b32 s20, 0
	s_cselect_b64 s[0:1], -1, 0
	s_lshl_b64 s[12:13], s[14:15], 2
	s_waitcnt lgkmcnt(0)
	s_add_u32 s12, s26, s12
	s_addc_u32 s13, s27, s13
	s_lshl_b64 s[2:3], s[2:3], 2
	v_lshl_add_u32 v2, s6, 5, v0
	s_add_u32 s14, s28, s2
	v_ashrrev_i32_e32 v3, 31, v2
	s_addc_u32 s15, s29, s3
	v_cmp_gt_i32_e64 s[2:3], s21, v2
	v_lshlrev_b64 v[2:3], 2, v[2:3]
	s_load_dword s6, s[4:5], 0x84
	s_cmp_gt_i32 s22, 0
	v_mov_b32_e32 v4, s15
	v_add_co_u32_e32 v6, vcc, s14, v2
	v_addc_co_u32_e32 v7, vcc, v4, v3, vcc
	v_lshlrev_b32_e32 v8, 7, v0
	v_lshlrev_b32_e32 v4, 2, v1
	s_cselect_b64 s[4:5], -1, 0
	v_add_u32_e32 v9, v8, v4
	v_or_b32_e32 v10, 0x1000, v4
	v_mov_b32_e32 v4, s13
	v_add_co_u32_e32 v12, vcc, s12, v2
	v_cndmask_b32_e64 v2, 0, 1, s[4:5]
	v_add_u32_e32 v11, v10, v8
	v_addc_co_u32_e32 v13, vcc, v4, v3, vcc
	v_cmp_ne_u32_e64 s[4:5], 1, v2
	v_add_u32_e32 v14, 0x400, v10
	v_add_u32_e32 v15, 0x800, v10
	;; [unrolled: 1-line block ×3, first 2 shown]
	s_branch .LBB34_4
.LBB34_3:                               ;   in Loop: Header=BB34_4 Depth=1
	s_waitcnt lgkmcnt(0)
	s_add_i32 s7, s7, s6
	s_cmp_gt_i32 s7, s23
	s_cbranch_scc1 .LBB34_13
.LBB34_4:                               ; =>This Loop Header: Depth=1
                                        ;     Child Loop BB34_7 Depth 2
	s_and_b64 vcc, exec, s[4:5]
	s_cbranch_vccnz .LBB34_3
; %bb.5:                                ;   in Loop: Header=BB34_4 Depth=1
	v_lshl_add_u32 v17, s7, 5, v1
	v_ashrrev_i32_e32 v2, 31, v17
	v_mul_lo_u32 v4, s10, v2
	v_mul_lo_u32 v5, s11, v17
	v_mad_u64_u32 v[2:3], s[12:13], s10, v17, 0
	v_cmp_gt_i32_e32 vcc, s22, v17
	s_and_b64 s[12:13], s[2:3], vcc
	v_add3_u32 v3, v3, v4, v5
	v_lshlrev_b64 v[2:3], 2, v[2:3]
	s_mov_b32 s20, 0
	v_add_co_u32_e32 v2, vcc, v12, v2
	v_addc_co_u32_e32 v3, vcc, v13, v3, vcc
	s_branch .LBB34_7
.LBB34_6:                               ;   in Loop: Header=BB34_7 Depth=2
	s_or_b64 exec, exec, s[14:15]
	s_add_i32 s20, s20, 32
	s_cmp_ge_i32 s20, s22
	s_waitcnt vmcnt(0) lgkmcnt(0)
	s_barrier
	s_cbranch_scc1 .LBB34_3
.LBB34_7:                               ;   Parent Loop BB34_4 Depth=1
                                        ; =>  This Inner Loop Header: Depth=2
	v_add_u32_e32 v4, s20, v1
	v_cmp_gt_i32_e32 vcc, s22, v4
	s_and_b64 s[26:27], s[2:3], vcc
	v_mov_b32_e32 v5, 0
	v_mov_b32_e32 v18, 0
	s_and_saveexec_b64 s[14:15], s[26:27]
	s_cbranch_execz .LBB34_9
; %bb.8:                                ;   in Loop: Header=BB34_7 Depth=2
	v_ashrrev_i32_e32 v20, 31, v4
	v_mul_lo_u32 v21, s9, v4
	v_mad_u64_u32 v[18:19], s[26:27], s8, v4, 0
	v_mul_lo_u32 v4, s8, v20
	v_add3_u32 v19, v19, v4, v21
	v_lshlrev_b64 v[18:19], 2, v[18:19]
	v_add_co_u32_e32 v18, vcc, v6, v18
	v_addc_co_u32_e32 v19, vcc, v7, v19, vcc
	flat_load_dword v18, v[18:19]
.LBB34_9:                               ;   in Loop: Header=BB34_7 Depth=2
	s_or_b64 exec, exec, s[14:15]
	s_waitcnt vmcnt(0) lgkmcnt(0)
	ds_write_b32 v9, v18
	v_add_u32_e32 v18, s20, v0
	v_cndmask_b32_e64 v4, v17, v18, s[0:1]
	v_cndmask_b32_e64 v19, v18, v17, s[0:1]
	v_cmp_gt_i32_e32 vcc, v4, v19
	v_cndmask_b32_e32 v4, v18, v17, vcc
	v_cndmask_b32_e32 v18, v17, v18, vcc
	v_max_i32_e32 v19, v4, v18
	v_cmp_gt_i32_e32 vcc, s22, v19
	s_and_saveexec_b64 s[14:15], vcc
	s_cbranch_execz .LBB34_11
; %bb.10:                               ;   in Loop: Header=BB34_7 Depth=2
	v_ashrrev_i32_e32 v5, 31, v18
	v_mul_lo_u32 v20, s19, v18
	v_mad_u64_u32 v[18:19], s[26:27], s18, v18, 0
	v_mul_lo_u32 v5, s18, v5
	v_add3_u32 v19, v19, v5, v20
	v_lshlrev_b64 v[18:19], 2, v[18:19]
	v_ashrrev_i32_e32 v5, 31, v4
	v_mov_b32_e32 v20, s17
	v_add_co_u32_e32 v18, vcc, s16, v18
	v_lshlrev_b64 v[4:5], 2, v[4:5]
	v_addc_co_u32_e32 v19, vcc, v20, v19, vcc
	v_add_co_u32_e32 v4, vcc, v18, v4
	v_addc_co_u32_e32 v5, vcc, v19, v5, vcc
	flat_load_dword v5, v[4:5]
.LBB34_11:                              ;   in Loop: Header=BB34_7 Depth=2
	s_or_b64 exec, exec, s[14:15]
	s_waitcnt vmcnt(0) lgkmcnt(0)
	ds_write_b32 v11, v5
	s_waitcnt lgkmcnt(0)
	s_barrier
	s_and_saveexec_b64 s[14:15], s[12:13]
	s_cbranch_execz .LBB34_6
; %bb.12:                               ;   in Loop: Header=BB34_7 Depth=2
	flat_load_dword v28, v[2:3]
	ds_read_b128 v[18:21], v8
	ds_read2_b32 v[4:5], v10 offset1:32
	ds_read2_b32 v[26:27], v10 offset0:64 offset1:96
	ds_read_b128 v[22:25], v8 offset:16
	s_waitcnt lgkmcnt(0)
	v_fma_f32 v29, v18, v4, 0
	v_fmac_f32_e32 v29, v19, v5
	ds_read2_b32 v[4:5], v10 offset0:128 offset1:160
	v_fmac_f32_e32 v29, v20, v26
	v_fmac_f32_e32 v29, v21, v27
	ds_read2_b32 v[26:27], v10 offset0:192 offset1:224
	ds_read_b128 v[18:21], v8 offset:32
	s_waitcnt lgkmcnt(0)
	v_fmac_f32_e32 v29, v22, v4
	v_fmac_f32_e32 v29, v23, v5
	ds_read2_b32 v[4:5], v14 offset1:32
	v_fmac_f32_e32 v29, v24, v26
	v_fmac_f32_e32 v29, v25, v27
	ds_read_b128 v[22:25], v8 offset:48
	ds_read2_b32 v[26:27], v14 offset0:64 offset1:96
	s_waitcnt lgkmcnt(0)
	v_fmac_f32_e32 v29, v18, v4
	v_fmac_f32_e32 v29, v19, v5
	ds_read2_b32 v[4:5], v14 offset0:128 offset1:160
	v_fmac_f32_e32 v29, v20, v26
	v_fmac_f32_e32 v29, v21, v27
	ds_read2_b32 v[26:27], v14 offset0:192 offset1:224
	s_waitcnt lgkmcnt(0)
	v_fmac_f32_e32 v29, v22, v4
	v_fmac_f32_e32 v29, v23, v5
	ds_read_b128 v[18:21], v8 offset:64
	ds_read2_b32 v[4:5], v15 offset1:32
	v_fmac_f32_e32 v29, v24, v26
	v_fmac_f32_e32 v29, v25, v27
	ds_read2_b32 v[26:27], v15 offset0:64 offset1:96
	ds_read_b128 v[22:25], v8 offset:80
	s_waitcnt lgkmcnt(0)
	v_fmac_f32_e32 v29, v18, v4
	v_fmac_f32_e32 v29, v19, v5
	ds_read2_b32 v[4:5], v15 offset0:128 offset1:160
	v_fmac_f32_e32 v29, v20, v26
	v_fmac_f32_e32 v29, v21, v27
	ds_read2_b32 v[26:27], v15 offset0:192 offset1:224
	s_waitcnt lgkmcnt(0)
	v_fmac_f32_e32 v29, v22, v4
	v_fmac_f32_e32 v29, v23, v5
	ds_read_b128 v[18:21], v8 offset:96
	ds_read2_b32 v[4:5], v16 offset1:32
	v_fmac_f32_e32 v29, v24, v26
	v_fmac_f32_e32 v29, v25, v27
	ds_read2_b32 v[26:27], v16 offset0:64 offset1:96
	ds_read_b128 v[22:25], v8 offset:112
	s_waitcnt lgkmcnt(0)
	v_fmac_f32_e32 v29, v18, v4
	v_fmac_f32_e32 v29, v19, v5
	ds_read2_b32 v[4:5], v16 offset0:128 offset1:160
	ds_read2_b32 v[18:19], v16 offset0:192 offset1:224
	v_fmac_f32_e32 v29, v20, v26
	v_fmac_f32_e32 v29, v21, v27
	s_waitcnt lgkmcnt(0)
	v_fmac_f32_e32 v29, v22, v4
	v_fmac_f32_e32 v29, v23, v5
	v_fmac_f32_e32 v29, v24, v18
	v_fmac_f32_e32 v29, v25, v19
	s_waitcnt vmcnt(0)
	v_fmac_f32_e32 v28, s24, v29
	flat_store_dword v[2:3], v28
	s_branch .LBB34_6
.LBB34_13:
	s_endpgm
	.section	.rodata,"a",@progbits
	.p2align	6, 0x0
	.amdhsa_kernel _ZL24rocblas_symm_hemm_kernelILb0ELb1ELi32EPKfPKS1_PKPfEvbiiT2_T3_lllS8_lllT4_llli
		.amdhsa_group_segment_fixed_size 8192
		.amdhsa_private_segment_fixed_size 0
		.amdhsa_kernarg_size 384
		.amdhsa_user_sgpr_count 6
		.amdhsa_user_sgpr_private_segment_buffer 1
		.amdhsa_user_sgpr_dispatch_ptr 0
		.amdhsa_user_sgpr_queue_ptr 0
		.amdhsa_user_sgpr_kernarg_segment_ptr 1
		.amdhsa_user_sgpr_dispatch_id 0
		.amdhsa_user_sgpr_flat_scratch_init 0
		.amdhsa_user_sgpr_private_segment_size 0
		.amdhsa_uses_dynamic_stack 0
		.amdhsa_system_sgpr_private_segment_wavefront_offset 0
		.amdhsa_system_sgpr_workgroup_id_x 1
		.amdhsa_system_sgpr_workgroup_id_y 1
		.amdhsa_system_sgpr_workgroup_id_z 1
		.amdhsa_system_sgpr_workgroup_info 0
		.amdhsa_system_vgpr_workitem_id 1
		.amdhsa_next_free_vgpr 30
		.amdhsa_next_free_sgpr 61
		.amdhsa_reserve_vcc 1
		.amdhsa_reserve_flat_scratch 0
		.amdhsa_float_round_mode_32 0
		.amdhsa_float_round_mode_16_64 0
		.amdhsa_float_denorm_mode_32 3
		.amdhsa_float_denorm_mode_16_64 3
		.amdhsa_dx10_clamp 1
		.amdhsa_ieee_mode 1
		.amdhsa_fp16_overflow 0
		.amdhsa_exception_fp_ieee_invalid_op 0
		.amdhsa_exception_fp_denorm_src 0
		.amdhsa_exception_fp_ieee_div_zero 0
		.amdhsa_exception_fp_ieee_overflow 0
		.amdhsa_exception_fp_ieee_underflow 0
		.amdhsa_exception_fp_ieee_inexact 0
		.amdhsa_exception_int_div_zero 0
	.end_amdhsa_kernel
	.section	.text._ZL24rocblas_symm_hemm_kernelILb0ELb1ELi32EPKfPKS1_PKPfEvbiiT2_T3_lllS8_lllT4_llli,"axG",@progbits,_ZL24rocblas_symm_hemm_kernelILb0ELb1ELi32EPKfPKS1_PKPfEvbiiT2_T3_lllS8_lllT4_llli,comdat
.Lfunc_end34:
	.size	_ZL24rocblas_symm_hemm_kernelILb0ELb1ELi32EPKfPKS1_PKPfEvbiiT2_T3_lllS8_lllT4_llli, .Lfunc_end34-_ZL24rocblas_symm_hemm_kernelILb0ELb1ELi32EPKfPKS1_PKPfEvbiiT2_T3_lllS8_lllT4_llli
                                        ; -- End function
	.set _ZL24rocblas_symm_hemm_kernelILb0ELb1ELi32EPKfPKS1_PKPfEvbiiT2_T3_lllS8_lllT4_llli.num_vgpr, 30
	.set _ZL24rocblas_symm_hemm_kernelILb0ELb1ELi32EPKfPKS1_PKPfEvbiiT2_T3_lllS8_lllT4_llli.num_agpr, 0
	.set _ZL24rocblas_symm_hemm_kernelILb0ELb1ELi32EPKfPKS1_PKPfEvbiiT2_T3_lllS8_lllT4_llli.numbered_sgpr, 32
	.set _ZL24rocblas_symm_hemm_kernelILb0ELb1ELi32EPKfPKS1_PKPfEvbiiT2_T3_lllS8_lllT4_llli.num_named_barrier, 0
	.set _ZL24rocblas_symm_hemm_kernelILb0ELb1ELi32EPKfPKS1_PKPfEvbiiT2_T3_lllS8_lllT4_llli.private_seg_size, 0
	.set _ZL24rocblas_symm_hemm_kernelILb0ELb1ELi32EPKfPKS1_PKPfEvbiiT2_T3_lllS8_lllT4_llli.uses_vcc, 1
	.set _ZL24rocblas_symm_hemm_kernelILb0ELb1ELi32EPKfPKS1_PKPfEvbiiT2_T3_lllS8_lllT4_llli.uses_flat_scratch, 0
	.set _ZL24rocblas_symm_hemm_kernelILb0ELb1ELi32EPKfPKS1_PKPfEvbiiT2_T3_lllS8_lllT4_llli.has_dyn_sized_stack, 0
	.set _ZL24rocblas_symm_hemm_kernelILb0ELb1ELi32EPKfPKS1_PKPfEvbiiT2_T3_lllS8_lllT4_llli.has_recursion, 0
	.set _ZL24rocblas_symm_hemm_kernelILb0ELb1ELi32EPKfPKS1_PKPfEvbiiT2_T3_lllS8_lllT4_llli.has_indirect_call, 0
	.section	.AMDGPU.csdata,"",@progbits
; Kernel info:
; codeLenInByte = 1136
; TotalNumSgprs: 36
; NumVgprs: 30
; ScratchSize: 0
; MemoryBound: 0
; FloatMode: 240
; IeeeMode: 1
; LDSByteSize: 8192 bytes/workgroup (compile time only)
; SGPRBlocks: 8
; VGPRBlocks: 7
; NumSGPRsForWavesPerEU: 65
; NumVGPRsForWavesPerEU: 30
; Occupancy: 8
; WaveLimiterHint : 1
; COMPUTE_PGM_RSRC2:SCRATCH_EN: 0
; COMPUTE_PGM_RSRC2:USER_SGPR: 6
; COMPUTE_PGM_RSRC2:TRAP_HANDLER: 0
; COMPUTE_PGM_RSRC2:TGID_X_EN: 1
; COMPUTE_PGM_RSRC2:TGID_Y_EN: 1
; COMPUTE_PGM_RSRC2:TGID_Z_EN: 1
; COMPUTE_PGM_RSRC2:TIDIG_COMP_CNT: 1
	.section	.text._ZL25rocblas_symm_scale_kernelILi128ELi8EfPKPfEviiT1_T2_llli,"axG",@progbits,_ZL25rocblas_symm_scale_kernelILi128ELi8EfPKPfEviiT1_T2_llli,comdat
	.globl	_ZL25rocblas_symm_scale_kernelILi128ELi8EfPKPfEviiT1_T2_llli ; -- Begin function _ZL25rocblas_symm_scale_kernelILi128ELi8EfPKPfEviiT1_T2_llli
	.p2align	8
	.type	_ZL25rocblas_symm_scale_kernelILi128ELi8EfPKPfEviiT1_T2_llli,@function
_ZL25rocblas_symm_scale_kernelILi128ELi8EfPKPfEviiT1_T2_llli: ; @_ZL25rocblas_symm_scale_kernelILi128ELi8EfPKPfEviiT1_T2_llli
; %bb.0:
	s_load_dwordx4 s[0:3], s[4:5], 0x0
	s_waitcnt lgkmcnt(0)
	v_cmp_eq_f32_e64 s[10:11], s2, 1.0
	s_and_b64 vcc, exec, s[10:11]
	s_cbranch_vccnz .LBB35_7
; %bb.1:
	v_lshl_add_u32 v2, s6, 7, v0
	v_lshl_add_u32 v0, s7, 3, v1
	v_mov_b32_e32 v1, 0
	s_ashr_i32 s7, s1, 31
	s_mov_b32 s6, s1
	v_cmp_gt_i64_e32 vcc, s[6:7], v[0:1]
	v_cmp_gt_u32_e64 s[0:1], s0, v2
	s_and_b64 s[0:1], s[0:1], vcc
	s_and_saveexec_b64 s[10:11], s[0:1]
	s_cbranch_execz .LBB35_7
; %bb.2:
	s_load_dwordx2 s[0:1], s[4:5], 0x20
	s_load_dwordx4 s[12:15], s[4:5], 0x10
	s_load_dword s3, s[4:5], 0x3c
	s_mov_b32 s9, 0
	s_waitcnt lgkmcnt(0)
	v_mad_u64_u32 v[4:5], s[4:5], s0, v0, 0
	s_lshl_b64 s[4:5], s[8:9], 3
	s_add_u32 s4, s12, s4
	v_mov_b32_e32 v3, v5
	v_mad_u64_u32 v[5:6], s[8:9], s1, v0, v[3:4]
	s_addc_u32 s5, s13, s5
	s_load_dwordx2 s[4:5], s[4:5], 0x0
	v_lshlrev_b64 v[4:5], 2, v[4:5]
	v_mov_b32_e32 v3, v1
	s_lshl_b64 s[8:9], s[14:15], 2
	v_mov_b32_e32 v6, s9
	v_add_co_u32_e32 v4, vcc, s8, v4
	v_lshlrev_b64 v[2:3], 2, v[2:3]
	v_addc_co_u32_e32 v5, vcc, v5, v6, vcc
	v_add_co_u32_e32 v2, vcc, v4, v2
	s_lshl_b32 s3, s3, 3
	v_addc_co_u32_e32 v3, vcc, v5, v3, vcc
	s_waitcnt lgkmcnt(0)
	v_add_co_u32_e32 v2, vcc, s4, v2
	s_mul_i32 s1, s1, s3
	s_mul_hi_u32 s4, s0, s3
	s_add_i32 s1, s4, s1
	s_mul_i32 s0, s0, s3
	v_mov_b32_e32 v4, s5
	s_lshl_b64 s[4:5], s[0:1], 2
	v_cmp_neq_f32_e64 s[0:1], s2, 0
	v_addc_co_u32_e32 v3, vcc, v4, v3, vcc
	v_cndmask_b32_e64 v4, 0, 1, s[0:1]
	s_mov_b64 s[8:9], 0
	v_cmp_ne_u32_e64 s[0:1], 1, v4
	v_mov_b32_e32 v4, s5
	s_branch .LBB35_5
.LBB35_3:                               ;   in Loop: Header=BB35_5 Depth=1
	flat_load_dword v5, v[2:3]
	s_waitcnt vmcnt(0) lgkmcnt(0)
	v_mul_f32_e32 v5, s2, v5
.LBB35_4:                               ;   in Loop: Header=BB35_5 Depth=1
	v_add_co_u32_e32 v0, vcc, s3, v0
	v_addc_co_u32_e32 v1, vcc, 0, v1, vcc
	v_cmp_le_i64_e32 vcc, s[6:7], v[0:1]
	flat_store_dword v[2:3], v5
	s_or_b64 s[8:9], vcc, s[8:9]
	v_add_co_u32_e32 v2, vcc, s4, v2
	v_addc_co_u32_e32 v3, vcc, v3, v4, vcc
	s_andn2_b64 exec, exec, s[8:9]
	s_cbranch_execz .LBB35_7
.LBB35_5:                               ; =>This Inner Loop Header: Depth=1
	s_and_b64 vcc, exec, s[0:1]
	s_cbranch_vccz .LBB35_3
; %bb.6:                                ;   in Loop: Header=BB35_5 Depth=1
	v_mov_b32_e32 v5, 0
	s_branch .LBB35_4
.LBB35_7:
	s_endpgm
	.section	.rodata,"a",@progbits
	.p2align	6, 0x0
	.amdhsa_kernel _ZL25rocblas_symm_scale_kernelILi128ELi8EfPKPfEviiT1_T2_llli
		.amdhsa_group_segment_fixed_size 0
		.amdhsa_private_segment_fixed_size 0
		.amdhsa_kernarg_size 312
		.amdhsa_user_sgpr_count 6
		.amdhsa_user_sgpr_private_segment_buffer 1
		.amdhsa_user_sgpr_dispatch_ptr 0
		.amdhsa_user_sgpr_queue_ptr 0
		.amdhsa_user_sgpr_kernarg_segment_ptr 1
		.amdhsa_user_sgpr_dispatch_id 0
		.amdhsa_user_sgpr_flat_scratch_init 0
		.amdhsa_user_sgpr_private_segment_size 0
		.amdhsa_uses_dynamic_stack 0
		.amdhsa_system_sgpr_private_segment_wavefront_offset 0
		.amdhsa_system_sgpr_workgroup_id_x 1
		.amdhsa_system_sgpr_workgroup_id_y 1
		.amdhsa_system_sgpr_workgroup_id_z 1
		.amdhsa_system_sgpr_workgroup_info 0
		.amdhsa_system_vgpr_workitem_id 1
		.amdhsa_next_free_vgpr 7
		.amdhsa_next_free_sgpr 16
		.amdhsa_reserve_vcc 1
		.amdhsa_reserve_flat_scratch 0
		.amdhsa_float_round_mode_32 0
		.amdhsa_float_round_mode_16_64 0
		.amdhsa_float_denorm_mode_32 3
		.amdhsa_float_denorm_mode_16_64 3
		.amdhsa_dx10_clamp 1
		.amdhsa_ieee_mode 1
		.amdhsa_fp16_overflow 0
		.amdhsa_exception_fp_ieee_invalid_op 0
		.amdhsa_exception_fp_denorm_src 0
		.amdhsa_exception_fp_ieee_div_zero 0
		.amdhsa_exception_fp_ieee_overflow 0
		.amdhsa_exception_fp_ieee_underflow 0
		.amdhsa_exception_fp_ieee_inexact 0
		.amdhsa_exception_int_div_zero 0
	.end_amdhsa_kernel
	.section	.text._ZL25rocblas_symm_scale_kernelILi128ELi8EfPKPfEviiT1_T2_llli,"axG",@progbits,_ZL25rocblas_symm_scale_kernelILi128ELi8EfPKPfEviiT1_T2_llli,comdat
.Lfunc_end35:
	.size	_ZL25rocblas_symm_scale_kernelILi128ELi8EfPKPfEviiT1_T2_llli, .Lfunc_end35-_ZL25rocblas_symm_scale_kernelILi128ELi8EfPKPfEviiT1_T2_llli
                                        ; -- End function
	.set _ZL25rocblas_symm_scale_kernelILi128ELi8EfPKPfEviiT1_T2_llli.num_vgpr, 7
	.set _ZL25rocblas_symm_scale_kernelILi128ELi8EfPKPfEviiT1_T2_llli.num_agpr, 0
	.set _ZL25rocblas_symm_scale_kernelILi128ELi8EfPKPfEviiT1_T2_llli.numbered_sgpr, 16
	.set _ZL25rocblas_symm_scale_kernelILi128ELi8EfPKPfEviiT1_T2_llli.num_named_barrier, 0
	.set _ZL25rocblas_symm_scale_kernelILi128ELi8EfPKPfEviiT1_T2_llli.private_seg_size, 0
	.set _ZL25rocblas_symm_scale_kernelILi128ELi8EfPKPfEviiT1_T2_llli.uses_vcc, 1
	.set _ZL25rocblas_symm_scale_kernelILi128ELi8EfPKPfEviiT1_T2_llli.uses_flat_scratch, 0
	.set _ZL25rocblas_symm_scale_kernelILi128ELi8EfPKPfEviiT1_T2_llli.has_dyn_sized_stack, 0
	.set _ZL25rocblas_symm_scale_kernelILi128ELi8EfPKPfEviiT1_T2_llli.has_recursion, 0
	.set _ZL25rocblas_symm_scale_kernelILi128ELi8EfPKPfEviiT1_T2_llli.has_indirect_call, 0
	.section	.AMDGPU.csdata,"",@progbits
; Kernel info:
; codeLenInByte = 348
; TotalNumSgprs: 20
; NumVgprs: 7
; ScratchSize: 0
; MemoryBound: 0
; FloatMode: 240
; IeeeMode: 1
; LDSByteSize: 0 bytes/workgroup (compile time only)
; SGPRBlocks: 2
; VGPRBlocks: 1
; NumSGPRsForWavesPerEU: 20
; NumVGPRsForWavesPerEU: 7
; Occupancy: 10
; WaveLimiterHint : 0
; COMPUTE_PGM_RSRC2:SCRATCH_EN: 0
; COMPUTE_PGM_RSRC2:USER_SGPR: 6
; COMPUTE_PGM_RSRC2:TRAP_HANDLER: 0
; COMPUTE_PGM_RSRC2:TGID_X_EN: 1
; COMPUTE_PGM_RSRC2:TGID_Y_EN: 1
; COMPUTE_PGM_RSRC2:TGID_Z_EN: 1
; COMPUTE_PGM_RSRC2:TIDIG_COMP_CNT: 1
	.section	.text._ZL24rocblas_symm_hemm_kernelILb0ELb0ELi32EfPKPKfPKPfEvbiiT2_T3_lllS8_lllT4_llli,"axG",@progbits,_ZL24rocblas_symm_hemm_kernelILb0ELb0ELi32EfPKPKfPKPfEvbiiT2_T3_lllS8_lllT4_llli,comdat
	.globl	_ZL24rocblas_symm_hemm_kernelILb0ELb0ELi32EfPKPKfPKPfEvbiiT2_T3_lllS8_lllT4_llli ; -- Begin function _ZL24rocblas_symm_hemm_kernelILb0ELb0ELi32EfPKPKfPKPfEvbiiT2_T3_lllS8_lllT4_llli
	.p2align	8
	.type	_ZL24rocblas_symm_hemm_kernelILb0ELb0ELi32EfPKPKfPKPfEvbiiT2_T3_lllS8_lllT4_llli,@function
_ZL24rocblas_symm_hemm_kernelILb0ELb0ELi32EfPKPKfPKPfEvbiiT2_T3_lllS8_lllT4_llli: ; @_ZL24rocblas_symm_hemm_kernelILb0ELb0ELi32EfPKPKfPKPfEvbiiT2_T3_lllS8_lllT4_llli
; %bb.0:
	s_load_dwordx4 s[12:15], s[4:5], 0x0
	s_waitcnt lgkmcnt(0)
	v_cmp_eq_f32_e64 s[0:1], s15, 0
	s_and_b64 vcc, exec, s[0:1]
	s_cbranch_vccnz .LBB36_13
; %bb.1:
	s_add_i32 s0, s14, -1
	s_ashr_i32 s1, s0, 31
	s_lshr_b32 s1, s1, 27
	s_add_i32 s0, s0, s1
	s_ashr_i32 s24, s0, 5
	s_cmp_gt_i32 s7, s24
	s_cbranch_scc1 .LBB36_13
; %bb.2:
	s_load_dwordx4 s[0:3], s[4:5], 0x10
	s_load_dwordx2 s[10:11], s[4:5], 0x20
	s_mov_b32 s9, 0
	s_lshl_b64 s[8:9], s[8:9], 3
	v_lshl_add_u32 v2, s6, 5, v0
	s_waitcnt lgkmcnt(0)
	s_add_u32 s0, s0, s8
	s_addc_u32 s1, s1, s9
	s_load_dwordx2 s[26:27], s[0:1], 0x0
	s_load_dwordx4 s[20:23], s[4:5], 0x30
	s_load_dwordx2 s[16:17], s[4:5], 0x40
	s_load_dwordx2 s[18:19], s[4:5], 0x60
	s_load_dwordx4 s[28:31], s[4:5], 0x50
	s_lshl_b64 s[0:1], s[2:3], 2
	s_waitcnt lgkmcnt(0)
	s_add_u32 s25, s26, s0
	s_addc_u32 s26, s27, s1
	s_add_u32 s0, s20, s8
	s_addc_u32 s1, s21, s9
	s_load_dwordx2 s[0:1], s[0:1], 0x0
	s_lshl_b64 s[2:3], s[22:23], 2
	v_lshlrev_b32_e32 v7, 7, v0
	v_lshlrev_b32_e32 v3, 2, v1
	v_add_u32_e32 v8, v7, v3
	s_waitcnt lgkmcnt(0)
	s_add_u32 s6, s0, s2
	s_addc_u32 s27, s1, s3
	s_add_u32 s0, s28, s8
	s_addc_u32 s1, s29, s9
	s_load_dwordx2 s[2:3], s[0:1], 0x0
	s_bitcmp1_b32 s12, 0
	s_cselect_b64 s[0:1], -1, 0
	s_lshl_b64 s[8:9], s[30:31], 2
	v_or_b32_e32 v9, 0x1000, v3
	s_waitcnt lgkmcnt(0)
	s_add_u32 s8, s2, s8
	s_addc_u32 s9, s3, s9
	v_ashrrev_i32_e32 v3, 31, v2
	s_load_dword s12, s[4:5], 0x7c
	s_cmp_gt_i32 s13, 0
	v_lshlrev_b64 v[3:4], 2, v[2:3]
	s_cselect_b64 s[4:5], -1, 0
	v_mov_b32_e32 v5, s9
	v_add_co_u32_e32 v11, vcc, s8, v3
	v_cndmask_b32_e64 v3, 0, 1, s[4:5]
	v_add_u32_e32 v10, v9, v7
	v_cmp_gt_i32_e64 s[2:3], s13, v2
	v_addc_co_u32_e32 v12, vcc, v5, v4, vcc
	v_cmp_ne_u32_e64 s[4:5], 1, v3
	v_add_u32_e32 v13, 0x400, v9
	v_add_u32_e32 v14, 0x800, v9
	;; [unrolled: 1-line block ×3, first 2 shown]
	s_branch .LBB36_4
.LBB36_3:                               ;   in Loop: Header=BB36_4 Depth=1
	s_waitcnt lgkmcnt(0)
	s_add_i32 s7, s7, s12
	s_cmp_gt_i32 s7, s24
	s_cbranch_scc1 .LBB36_13
.LBB36_4:                               ; =>This Loop Header: Depth=1
                                        ;     Child Loop BB36_7 Depth 2
	s_and_b64 vcc, exec, s[4:5]
	s_cbranch_vccnz .LBB36_3
; %bb.5:                                ;   in Loop: Header=BB36_4 Depth=1
	v_lshl_add_u32 v5, s7, 5, v1
	v_ashrrev_i32_e32 v6, 31, v5
	v_mul_lo_u32 v16, s16, v6
	v_mul_lo_u32 v17, s17, v5
	v_mad_u64_u32 v[3:4], s[8:9], s16, v5, 0
	v_cmp_gt_i32_e32 vcc, s14, v5
	v_mul_lo_u32 v18, s18, v6
	v_mul_lo_u32 v19, s19, v5
	v_mad_u64_u32 v[5:6], s[8:9], s18, v5, 0
	v_add3_u32 v4, v4, v16, v17
	v_lshlrev_b64 v[3:4], 2, v[3:4]
	v_mov_b32_e32 v17, s27
	v_add_co_u32_e64 v16, s[8:9], s6, v3
	v_add3_u32 v6, v6, v18, v19
	v_addc_co_u32_e64 v17, s[8:9], v17, v4, s[8:9]
	v_lshlrev_b64 v[3:4], 2, v[5:6]
	s_and_b64 s[20:21], s[2:3], vcc
	v_add_co_u32_e64 v3, s[8:9], v11, v3
	v_addc_co_u32_e64 v4, s[8:9], v12, v4, s[8:9]
	s_mov_b32 s28, 0
	s_branch .LBB36_7
.LBB36_6:                               ;   in Loop: Header=BB36_7 Depth=2
	s_or_b64 exec, exec, s[8:9]
	s_add_i32 s28, s28, 32
	s_cmp_ge_i32 s28, s13
	s_waitcnt vmcnt(0) lgkmcnt(0)
	s_barrier
	s_cbranch_scc1 .LBB36_3
.LBB36_7:                               ;   Parent Loop BB36_4 Depth=1
                                        ; =>  This Inner Loop Header: Depth=2
	v_add_u32_e32 v6, s28, v1
	v_cndmask_b32_e64 v5, v6, v2, s[0:1]
	v_cndmask_b32_e64 v18, v2, v6, s[0:1]
	v_cmp_gt_i32_e64 s[8:9], v5, v18
	v_cndmask_b32_e64 v5, v2, v6, s[8:9]
	v_cndmask_b32_e64 v6, v6, v2, s[8:9]
	v_max_i32_e32 v18, v5, v6
	v_cmp_gt_i32_e64 s[8:9], s13, v18
	v_mov_b32_e32 v18, 0
	v_mov_b32_e32 v19, 0
	s_and_saveexec_b64 s[22:23], s[8:9]
	s_cbranch_execz .LBB36_9
; %bb.8:                                ;   in Loop: Header=BB36_7 Depth=2
	v_ashrrev_i32_e32 v21, 31, v6
	v_mul_lo_u32 v22, s11, v6
	v_mad_u64_u32 v[19:20], s[8:9], s10, v6, 0
	v_mul_lo_u32 v6, s10, v21
	v_mov_b32_e32 v21, s26
	v_add3_u32 v20, v20, v6, v22
	v_lshlrev_b64 v[19:20], 2, v[19:20]
	v_ashrrev_i32_e32 v6, 31, v5
	v_add_co_u32_e64 v19, s[8:9], s25, v19
	v_lshlrev_b64 v[5:6], 2, v[5:6]
	v_addc_co_u32_e64 v20, s[8:9], v21, v20, s[8:9]
	v_add_co_u32_e64 v5, s[8:9], v19, v5
	v_addc_co_u32_e64 v6, s[8:9], v20, v6, s[8:9]
	flat_load_dword v19, v[5:6]
.LBB36_9:                               ;   in Loop: Header=BB36_7 Depth=2
	s_or_b64 exec, exec, s[22:23]
	v_add_u32_e32 v5, s28, v0
	v_cmp_gt_i32_e64 s[8:9], s13, v5
	s_and_b64 s[8:9], s[8:9], vcc
	s_waitcnt vmcnt(0) lgkmcnt(0)
	ds_write_b32 v8, v19
	s_and_saveexec_b64 s[22:23], s[8:9]
	s_cbranch_execz .LBB36_11
; %bb.10:                               ;   in Loop: Header=BB36_7 Depth=2
	v_ashrrev_i32_e32 v6, 31, v5
	v_lshlrev_b64 v[5:6], 2, v[5:6]
	v_add_co_u32_e64 v5, s[8:9], v16, v5
	v_addc_co_u32_e64 v6, s[8:9], v17, v6, s[8:9]
	flat_load_dword v18, v[5:6]
.LBB36_11:                              ;   in Loop: Header=BB36_7 Depth=2
	s_or_b64 exec, exec, s[22:23]
	s_waitcnt vmcnt(0) lgkmcnt(0)
	ds_write_b32 v10, v18
	s_waitcnt lgkmcnt(0)
	s_barrier
	s_and_saveexec_b64 s[8:9], s[20:21]
	s_cbranch_execz .LBB36_6
; %bb.12:                               ;   in Loop: Header=BB36_7 Depth=2
	flat_load_dword v28, v[3:4]
	ds_read_b128 v[18:21], v7
	ds_read2_b32 v[5:6], v9 offset1:32
	ds_read2_b32 v[26:27], v9 offset0:64 offset1:96
	ds_read_b128 v[22:25], v7 offset:16
	s_waitcnt lgkmcnt(0)
	v_fma_f32 v29, v18, v5, 0
	v_fmac_f32_e32 v29, v19, v6
	ds_read2_b32 v[5:6], v9 offset0:128 offset1:160
	v_fmac_f32_e32 v29, v20, v26
	v_fmac_f32_e32 v29, v21, v27
	ds_read2_b32 v[26:27], v9 offset0:192 offset1:224
	ds_read_b128 v[18:21], v7 offset:32
	s_waitcnt lgkmcnt(0)
	v_fmac_f32_e32 v29, v22, v5
	v_fmac_f32_e32 v29, v23, v6
	ds_read2_b32 v[5:6], v13 offset1:32
	v_fmac_f32_e32 v29, v24, v26
	v_fmac_f32_e32 v29, v25, v27
	ds_read_b128 v[22:25], v7 offset:48
	ds_read2_b32 v[26:27], v13 offset0:64 offset1:96
	s_waitcnt lgkmcnt(0)
	v_fmac_f32_e32 v29, v18, v5
	v_fmac_f32_e32 v29, v19, v6
	ds_read2_b32 v[5:6], v13 offset0:128 offset1:160
	v_fmac_f32_e32 v29, v20, v26
	v_fmac_f32_e32 v29, v21, v27
	ds_read2_b32 v[26:27], v13 offset0:192 offset1:224
	s_waitcnt lgkmcnt(0)
	v_fmac_f32_e32 v29, v22, v5
	v_fmac_f32_e32 v29, v23, v6
	ds_read_b128 v[18:21], v7 offset:64
	ds_read2_b32 v[5:6], v14 offset1:32
	v_fmac_f32_e32 v29, v24, v26
	v_fmac_f32_e32 v29, v25, v27
	ds_read2_b32 v[26:27], v14 offset0:64 offset1:96
	ds_read_b128 v[22:25], v7 offset:80
	s_waitcnt lgkmcnt(0)
	v_fmac_f32_e32 v29, v18, v5
	v_fmac_f32_e32 v29, v19, v6
	ds_read2_b32 v[5:6], v14 offset0:128 offset1:160
	v_fmac_f32_e32 v29, v20, v26
	v_fmac_f32_e32 v29, v21, v27
	ds_read2_b32 v[26:27], v14 offset0:192 offset1:224
	s_waitcnt lgkmcnt(0)
	v_fmac_f32_e32 v29, v22, v5
	v_fmac_f32_e32 v29, v23, v6
	ds_read_b128 v[18:21], v7 offset:96
	ds_read2_b32 v[5:6], v15 offset1:32
	v_fmac_f32_e32 v29, v24, v26
	v_fmac_f32_e32 v29, v25, v27
	ds_read2_b32 v[26:27], v15 offset0:64 offset1:96
	ds_read_b128 v[22:25], v7 offset:112
	s_waitcnt lgkmcnt(0)
	v_fmac_f32_e32 v29, v18, v5
	v_fmac_f32_e32 v29, v19, v6
	ds_read2_b32 v[5:6], v15 offset0:128 offset1:160
	ds_read2_b32 v[18:19], v15 offset0:192 offset1:224
	v_fmac_f32_e32 v29, v20, v26
	v_fmac_f32_e32 v29, v21, v27
	s_waitcnt lgkmcnt(0)
	v_fmac_f32_e32 v29, v22, v5
	v_fmac_f32_e32 v29, v23, v6
	;; [unrolled: 1-line block ×4, first 2 shown]
	s_waitcnt vmcnt(0)
	v_fmac_f32_e32 v28, s15, v29
	flat_store_dword v[3:4], v28
	s_branch .LBB36_6
.LBB36_13:
	s_endpgm
	.section	.rodata,"a",@progbits
	.p2align	6, 0x0
	.amdhsa_kernel _ZL24rocblas_symm_hemm_kernelILb0ELb0ELi32EfPKPKfPKPfEvbiiT2_T3_lllS8_lllT4_llli
		.amdhsa_group_segment_fixed_size 8192
		.amdhsa_private_segment_fixed_size 0
		.amdhsa_kernarg_size 376
		.amdhsa_user_sgpr_count 6
		.amdhsa_user_sgpr_private_segment_buffer 1
		.amdhsa_user_sgpr_dispatch_ptr 0
		.amdhsa_user_sgpr_queue_ptr 0
		.amdhsa_user_sgpr_kernarg_segment_ptr 1
		.amdhsa_user_sgpr_dispatch_id 0
		.amdhsa_user_sgpr_flat_scratch_init 0
		.amdhsa_user_sgpr_private_segment_size 0
		.amdhsa_uses_dynamic_stack 0
		.amdhsa_system_sgpr_private_segment_wavefront_offset 0
		.amdhsa_system_sgpr_workgroup_id_x 1
		.amdhsa_system_sgpr_workgroup_id_y 1
		.amdhsa_system_sgpr_workgroup_id_z 1
		.amdhsa_system_sgpr_workgroup_info 0
		.amdhsa_system_vgpr_workitem_id 1
		.amdhsa_next_free_vgpr 30
		.amdhsa_next_free_sgpr 61
		.amdhsa_reserve_vcc 1
		.amdhsa_reserve_flat_scratch 0
		.amdhsa_float_round_mode_32 0
		.amdhsa_float_round_mode_16_64 0
		.amdhsa_float_denorm_mode_32 3
		.amdhsa_float_denorm_mode_16_64 3
		.amdhsa_dx10_clamp 1
		.amdhsa_ieee_mode 1
		.amdhsa_fp16_overflow 0
		.amdhsa_exception_fp_ieee_invalid_op 0
		.amdhsa_exception_fp_denorm_src 0
		.amdhsa_exception_fp_ieee_div_zero 0
		.amdhsa_exception_fp_ieee_overflow 0
		.amdhsa_exception_fp_ieee_underflow 0
		.amdhsa_exception_fp_ieee_inexact 0
		.amdhsa_exception_int_div_zero 0
	.end_amdhsa_kernel
	.section	.text._ZL24rocblas_symm_hemm_kernelILb0ELb0ELi32EfPKPKfPKPfEvbiiT2_T3_lllS8_lllT4_llli,"axG",@progbits,_ZL24rocblas_symm_hemm_kernelILb0ELb0ELi32EfPKPKfPKPfEvbiiT2_T3_lllS8_lllT4_llli,comdat
.Lfunc_end36:
	.size	_ZL24rocblas_symm_hemm_kernelILb0ELb0ELi32EfPKPKfPKPfEvbiiT2_T3_lllS8_lllT4_llli, .Lfunc_end36-_ZL24rocblas_symm_hemm_kernelILb0ELb0ELi32EfPKPKfPKPfEvbiiT2_T3_lllS8_lllT4_llli
                                        ; -- End function
	.set _ZL24rocblas_symm_hemm_kernelILb0ELb0ELi32EfPKPKfPKPfEvbiiT2_T3_lllS8_lllT4_llli.num_vgpr, 30
	.set _ZL24rocblas_symm_hemm_kernelILb0ELb0ELi32EfPKPKfPKPfEvbiiT2_T3_lllS8_lllT4_llli.num_agpr, 0
	.set _ZL24rocblas_symm_hemm_kernelILb0ELb0ELi32EfPKPKfPKPfEvbiiT2_T3_lllS8_lllT4_llli.numbered_sgpr, 32
	.set _ZL24rocblas_symm_hemm_kernelILb0ELb0ELi32EfPKPKfPKPfEvbiiT2_T3_lllS8_lllT4_llli.num_named_barrier, 0
	.set _ZL24rocblas_symm_hemm_kernelILb0ELb0ELi32EfPKPKfPKPfEvbiiT2_T3_lllS8_lllT4_llli.private_seg_size, 0
	.set _ZL24rocblas_symm_hemm_kernelILb0ELb0ELi32EfPKPKfPKPfEvbiiT2_T3_lllS8_lllT4_llli.uses_vcc, 1
	.set _ZL24rocblas_symm_hemm_kernelILb0ELb0ELi32EfPKPKfPKPfEvbiiT2_T3_lllS8_lllT4_llli.uses_flat_scratch, 0
	.set _ZL24rocblas_symm_hemm_kernelILb0ELb0ELi32EfPKPKfPKPfEvbiiT2_T3_lllS8_lllT4_llli.has_dyn_sized_stack, 0
	.set _ZL24rocblas_symm_hemm_kernelILb0ELb0ELi32EfPKPKfPKPfEvbiiT2_T3_lllS8_lllT4_llli.has_recursion, 0
	.set _ZL24rocblas_symm_hemm_kernelILb0ELb0ELi32EfPKPKfPKPfEvbiiT2_T3_lllS8_lllT4_llli.has_indirect_call, 0
	.section	.AMDGPU.csdata,"",@progbits
; Kernel info:
; codeLenInByte = 1204
; TotalNumSgprs: 36
; NumVgprs: 30
; ScratchSize: 0
; MemoryBound: 0
; FloatMode: 240
; IeeeMode: 1
; LDSByteSize: 8192 bytes/workgroup (compile time only)
; SGPRBlocks: 8
; VGPRBlocks: 7
; NumSGPRsForWavesPerEU: 65
; NumVGPRsForWavesPerEU: 30
; Occupancy: 8
; WaveLimiterHint : 1
; COMPUTE_PGM_RSRC2:SCRATCH_EN: 0
; COMPUTE_PGM_RSRC2:USER_SGPR: 6
; COMPUTE_PGM_RSRC2:TRAP_HANDLER: 0
; COMPUTE_PGM_RSRC2:TGID_X_EN: 1
; COMPUTE_PGM_RSRC2:TGID_Y_EN: 1
; COMPUTE_PGM_RSRC2:TGID_Z_EN: 1
; COMPUTE_PGM_RSRC2:TIDIG_COMP_CNT: 1
	.section	.text._ZL24rocblas_symm_hemm_kernelILb0ELb1ELi32EfPKPKfPKPfEvbiiT2_T3_lllS8_lllT4_llli,"axG",@progbits,_ZL24rocblas_symm_hemm_kernelILb0ELb1ELi32EfPKPKfPKPfEvbiiT2_T3_lllS8_lllT4_llli,comdat
	.globl	_ZL24rocblas_symm_hemm_kernelILb0ELb1ELi32EfPKPKfPKPfEvbiiT2_T3_lllS8_lllT4_llli ; -- Begin function _ZL24rocblas_symm_hemm_kernelILb0ELb1ELi32EfPKPKfPKPfEvbiiT2_T3_lllS8_lllT4_llli
	.p2align	8
	.type	_ZL24rocblas_symm_hemm_kernelILb0ELb1ELi32EfPKPKfPKPfEvbiiT2_T3_lllS8_lllT4_llli,@function
_ZL24rocblas_symm_hemm_kernelILb0ELb1ELi32EfPKPKfPKPfEvbiiT2_T3_lllS8_lllT4_llli: ; @_ZL24rocblas_symm_hemm_kernelILb0ELb1ELi32EfPKPKfPKPfEvbiiT2_T3_lllS8_lllT4_llli
; %bb.0:
	s_load_dwordx4 s[12:15], s[4:5], 0x0
	s_waitcnt lgkmcnt(0)
	v_cmp_eq_f32_e64 s[0:1], s15, 0
	s_and_b64 vcc, exec, s[0:1]
	s_cbranch_vccnz .LBB37_13
; %bb.1:
	s_add_i32 s0, s14, -1
	s_ashr_i32 s1, s0, 31
	s_lshr_b32 s1, s1, 27
	s_add_i32 s0, s0, s1
	s_ashr_i32 s20, s0, 5
	s_cmp_gt_i32 s7, s20
	s_cbranch_scc1 .LBB37_13
; %bb.2:
	s_load_dwordx4 s[0:3], s[4:5], 0x10
	s_load_dwordx2 s[10:11], s[4:5], 0x20
	s_mov_b32 s9, 0
	s_lshl_b64 s[18:19], s[8:9], 3
	v_lshl_add_u32 v2, s6, 5, v0
	s_waitcnt lgkmcnt(0)
	s_add_u32 s0, s0, s18
	s_addc_u32 s1, s1, s19
	s_load_dwordx2 s[22:23], s[0:1], 0x0
	s_load_dwordx4 s[24:27], s[4:5], 0x30
	s_load_dwordx2 s[8:9], s[4:5], 0x40
	s_load_dwordx2 s[16:17], s[4:5], 0x60
	s_load_dwordx4 s[28:31], s[4:5], 0x50
	s_lshl_b64 s[0:1], s[2:3], 2
	s_waitcnt lgkmcnt(0)
	s_add_u32 s21, s22, s0
	s_addc_u32 s22, s23, s1
	s_add_u32 s0, s24, s18
	s_addc_u32 s1, s25, s19
	;; [unrolled: 2-line block ×3, first 2 shown]
	s_load_dwordx2 s[18:19], s[2:3], 0x0
	s_load_dwordx2 s[24:25], s[0:1], 0x0
	s_bitcmp1_b32 s12, 0
	s_cselect_b64 s[0:1], -1, 0
	s_lshl_b64 s[2:3], s[30:31], 2
	s_waitcnt lgkmcnt(0)
	s_add_u32 s12, s18, s2
	s_addc_u32 s18, s19, s3
	s_lshl_b64 s[2:3], s[26:27], 2
	s_add_u32 s19, s24, s2
	v_ashrrev_i32_e32 v3, 31, v2
	s_addc_u32 s23, s25, s3
	v_cmp_gt_i32_e64 s[2:3], s13, v2
	v_lshlrev_b64 v[2:3], 2, v[2:3]
	s_load_dword s6, s[4:5], 0x7c
	s_cmp_gt_i32 s14, 0
	v_mov_b32_e32 v4, s23
	v_add_co_u32_e32 v6, vcc, s19, v2
	v_addc_co_u32_e32 v7, vcc, v4, v3, vcc
	v_lshlrev_b32_e32 v8, 7, v0
	v_lshlrev_b32_e32 v4, 2, v1
	s_cselect_b64 s[4:5], -1, 0
	v_add_u32_e32 v9, v8, v4
	v_or_b32_e32 v10, 0x1000, v4
	v_mov_b32_e32 v4, s18
	v_add_co_u32_e32 v12, vcc, s12, v2
	v_cndmask_b32_e64 v2, 0, 1, s[4:5]
	v_add_u32_e32 v11, v10, v8
	v_addc_co_u32_e32 v13, vcc, v4, v3, vcc
	v_cmp_ne_u32_e64 s[4:5], 1, v2
	v_add_u32_e32 v14, 0x400, v10
	v_add_u32_e32 v15, 0x800, v10
	;; [unrolled: 1-line block ×3, first 2 shown]
	s_branch .LBB37_4
.LBB37_3:                               ;   in Loop: Header=BB37_4 Depth=1
	s_waitcnt lgkmcnt(0)
	s_add_i32 s7, s7, s6
	s_cmp_gt_i32 s7, s20
	s_cbranch_scc1 .LBB37_13
.LBB37_4:                               ; =>This Loop Header: Depth=1
                                        ;     Child Loop BB37_7 Depth 2
	s_and_b64 vcc, exec, s[4:5]
	s_cbranch_vccnz .LBB37_3
; %bb.5:                                ;   in Loop: Header=BB37_4 Depth=1
	v_lshl_add_u32 v17, s7, 5, v1
	v_ashrrev_i32_e32 v2, 31, v17
	v_mul_lo_u32 v4, s16, v2
	v_mul_lo_u32 v5, s17, v17
	v_mad_u64_u32 v[2:3], s[12:13], s16, v17, 0
	v_cmp_gt_i32_e32 vcc, s14, v17
	s_and_b64 s[12:13], s[2:3], vcc
	v_add3_u32 v3, v3, v4, v5
	v_lshlrev_b64 v[2:3], 2, v[2:3]
	s_mov_b32 s23, 0
	v_add_co_u32_e32 v2, vcc, v12, v2
	v_addc_co_u32_e32 v3, vcc, v13, v3, vcc
	s_branch .LBB37_7
.LBB37_6:                               ;   in Loop: Header=BB37_7 Depth=2
	s_or_b64 exec, exec, s[18:19]
	s_add_i32 s23, s23, 32
	s_cmp_ge_i32 s23, s14
	s_waitcnt vmcnt(0) lgkmcnt(0)
	s_barrier
	s_cbranch_scc1 .LBB37_3
.LBB37_7:                               ;   Parent Loop BB37_4 Depth=1
                                        ; =>  This Inner Loop Header: Depth=2
	v_add_u32_e32 v4, s23, v1
	v_cmp_gt_i32_e32 vcc, s14, v4
	s_and_b64 s[24:25], s[2:3], vcc
	v_mov_b32_e32 v5, 0
	v_mov_b32_e32 v18, 0
	s_and_saveexec_b64 s[18:19], s[24:25]
	s_cbranch_execz .LBB37_9
; %bb.8:                                ;   in Loop: Header=BB37_7 Depth=2
	v_ashrrev_i32_e32 v20, 31, v4
	v_mul_lo_u32 v21, s9, v4
	v_mad_u64_u32 v[18:19], s[24:25], s8, v4, 0
	v_mul_lo_u32 v4, s8, v20
	v_add3_u32 v19, v19, v4, v21
	v_lshlrev_b64 v[18:19], 2, v[18:19]
	v_add_co_u32_e32 v18, vcc, v6, v18
	v_addc_co_u32_e32 v19, vcc, v7, v19, vcc
	flat_load_dword v18, v[18:19]
.LBB37_9:                               ;   in Loop: Header=BB37_7 Depth=2
	s_or_b64 exec, exec, s[18:19]
	s_waitcnt vmcnt(0) lgkmcnt(0)
	ds_write_b32 v9, v18
	v_add_u32_e32 v18, s23, v0
	v_cndmask_b32_e64 v4, v17, v18, s[0:1]
	v_cndmask_b32_e64 v19, v18, v17, s[0:1]
	v_cmp_gt_i32_e32 vcc, v4, v19
	v_cndmask_b32_e32 v4, v18, v17, vcc
	v_cndmask_b32_e32 v18, v17, v18, vcc
	v_max_i32_e32 v19, v4, v18
	v_cmp_gt_i32_e32 vcc, s14, v19
	s_and_saveexec_b64 s[18:19], vcc
	s_cbranch_execz .LBB37_11
; %bb.10:                               ;   in Loop: Header=BB37_7 Depth=2
	v_ashrrev_i32_e32 v5, 31, v18
	v_mul_lo_u32 v20, s11, v18
	v_mad_u64_u32 v[18:19], s[24:25], s10, v18, 0
	v_mul_lo_u32 v5, s10, v5
	v_add3_u32 v19, v19, v5, v20
	v_lshlrev_b64 v[18:19], 2, v[18:19]
	v_ashrrev_i32_e32 v5, 31, v4
	v_mov_b32_e32 v20, s22
	v_add_co_u32_e32 v18, vcc, s21, v18
	v_lshlrev_b64 v[4:5], 2, v[4:5]
	v_addc_co_u32_e32 v19, vcc, v20, v19, vcc
	v_add_co_u32_e32 v4, vcc, v18, v4
	v_addc_co_u32_e32 v5, vcc, v19, v5, vcc
	flat_load_dword v5, v[4:5]
.LBB37_11:                              ;   in Loop: Header=BB37_7 Depth=2
	s_or_b64 exec, exec, s[18:19]
	s_waitcnt vmcnt(0) lgkmcnt(0)
	ds_write_b32 v11, v5
	s_waitcnt lgkmcnt(0)
	s_barrier
	s_and_saveexec_b64 s[18:19], s[12:13]
	s_cbranch_execz .LBB37_6
; %bb.12:                               ;   in Loop: Header=BB37_7 Depth=2
	flat_load_dword v28, v[2:3]
	ds_read_b128 v[18:21], v8
	ds_read2_b32 v[4:5], v10 offset1:32
	ds_read2_b32 v[26:27], v10 offset0:64 offset1:96
	ds_read_b128 v[22:25], v8 offset:16
	s_waitcnt lgkmcnt(0)
	v_fma_f32 v29, v18, v4, 0
	v_fmac_f32_e32 v29, v19, v5
	ds_read2_b32 v[4:5], v10 offset0:128 offset1:160
	v_fmac_f32_e32 v29, v20, v26
	v_fmac_f32_e32 v29, v21, v27
	ds_read2_b32 v[26:27], v10 offset0:192 offset1:224
	ds_read_b128 v[18:21], v8 offset:32
	s_waitcnt lgkmcnt(0)
	v_fmac_f32_e32 v29, v22, v4
	v_fmac_f32_e32 v29, v23, v5
	ds_read2_b32 v[4:5], v14 offset1:32
	v_fmac_f32_e32 v29, v24, v26
	v_fmac_f32_e32 v29, v25, v27
	ds_read_b128 v[22:25], v8 offset:48
	ds_read2_b32 v[26:27], v14 offset0:64 offset1:96
	s_waitcnt lgkmcnt(0)
	v_fmac_f32_e32 v29, v18, v4
	v_fmac_f32_e32 v29, v19, v5
	ds_read2_b32 v[4:5], v14 offset0:128 offset1:160
	v_fmac_f32_e32 v29, v20, v26
	v_fmac_f32_e32 v29, v21, v27
	ds_read2_b32 v[26:27], v14 offset0:192 offset1:224
	s_waitcnt lgkmcnt(0)
	v_fmac_f32_e32 v29, v22, v4
	v_fmac_f32_e32 v29, v23, v5
	ds_read_b128 v[18:21], v8 offset:64
	ds_read2_b32 v[4:5], v15 offset1:32
	v_fmac_f32_e32 v29, v24, v26
	v_fmac_f32_e32 v29, v25, v27
	ds_read2_b32 v[26:27], v15 offset0:64 offset1:96
	ds_read_b128 v[22:25], v8 offset:80
	s_waitcnt lgkmcnt(0)
	v_fmac_f32_e32 v29, v18, v4
	v_fmac_f32_e32 v29, v19, v5
	ds_read2_b32 v[4:5], v15 offset0:128 offset1:160
	v_fmac_f32_e32 v29, v20, v26
	v_fmac_f32_e32 v29, v21, v27
	ds_read2_b32 v[26:27], v15 offset0:192 offset1:224
	s_waitcnt lgkmcnt(0)
	v_fmac_f32_e32 v29, v22, v4
	v_fmac_f32_e32 v29, v23, v5
	ds_read_b128 v[18:21], v8 offset:96
	ds_read2_b32 v[4:5], v16 offset1:32
	v_fmac_f32_e32 v29, v24, v26
	v_fmac_f32_e32 v29, v25, v27
	ds_read2_b32 v[26:27], v16 offset0:64 offset1:96
	ds_read_b128 v[22:25], v8 offset:112
	s_waitcnt lgkmcnt(0)
	v_fmac_f32_e32 v29, v18, v4
	v_fmac_f32_e32 v29, v19, v5
	ds_read2_b32 v[4:5], v16 offset0:128 offset1:160
	ds_read2_b32 v[18:19], v16 offset0:192 offset1:224
	v_fmac_f32_e32 v29, v20, v26
	v_fmac_f32_e32 v29, v21, v27
	s_waitcnt lgkmcnt(0)
	v_fmac_f32_e32 v29, v22, v4
	v_fmac_f32_e32 v29, v23, v5
	;; [unrolled: 1-line block ×4, first 2 shown]
	s_waitcnt vmcnt(0)
	v_fmac_f32_e32 v28, s15, v29
	flat_store_dword v[2:3], v28
	s_branch .LBB37_6
.LBB37_13:
	s_endpgm
	.section	.rodata,"a",@progbits
	.p2align	6, 0x0
	.amdhsa_kernel _ZL24rocblas_symm_hemm_kernelILb0ELb1ELi32EfPKPKfPKPfEvbiiT2_T3_lllS8_lllT4_llli
		.amdhsa_group_segment_fixed_size 8192
		.amdhsa_private_segment_fixed_size 0
		.amdhsa_kernarg_size 376
		.amdhsa_user_sgpr_count 6
		.amdhsa_user_sgpr_private_segment_buffer 1
		.amdhsa_user_sgpr_dispatch_ptr 0
		.amdhsa_user_sgpr_queue_ptr 0
		.amdhsa_user_sgpr_kernarg_segment_ptr 1
		.amdhsa_user_sgpr_dispatch_id 0
		.amdhsa_user_sgpr_flat_scratch_init 0
		.amdhsa_user_sgpr_private_segment_size 0
		.amdhsa_uses_dynamic_stack 0
		.amdhsa_system_sgpr_private_segment_wavefront_offset 0
		.amdhsa_system_sgpr_workgroup_id_x 1
		.amdhsa_system_sgpr_workgroup_id_y 1
		.amdhsa_system_sgpr_workgroup_id_z 1
		.amdhsa_system_sgpr_workgroup_info 0
		.amdhsa_system_vgpr_workitem_id 1
		.amdhsa_next_free_vgpr 30
		.amdhsa_next_free_sgpr 61
		.amdhsa_reserve_vcc 1
		.amdhsa_reserve_flat_scratch 0
		.amdhsa_float_round_mode_32 0
		.amdhsa_float_round_mode_16_64 0
		.amdhsa_float_denorm_mode_32 3
		.amdhsa_float_denorm_mode_16_64 3
		.amdhsa_dx10_clamp 1
		.amdhsa_ieee_mode 1
		.amdhsa_fp16_overflow 0
		.amdhsa_exception_fp_ieee_invalid_op 0
		.amdhsa_exception_fp_denorm_src 0
		.amdhsa_exception_fp_ieee_div_zero 0
		.amdhsa_exception_fp_ieee_overflow 0
		.amdhsa_exception_fp_ieee_underflow 0
		.amdhsa_exception_fp_ieee_inexact 0
		.amdhsa_exception_int_div_zero 0
	.end_amdhsa_kernel
	.section	.text._ZL24rocblas_symm_hemm_kernelILb0ELb1ELi32EfPKPKfPKPfEvbiiT2_T3_lllS8_lllT4_llli,"axG",@progbits,_ZL24rocblas_symm_hemm_kernelILb0ELb1ELi32EfPKPKfPKPfEvbiiT2_T3_lllS8_lllT4_llli,comdat
.Lfunc_end37:
	.size	_ZL24rocblas_symm_hemm_kernelILb0ELb1ELi32EfPKPKfPKPfEvbiiT2_T3_lllS8_lllT4_llli, .Lfunc_end37-_ZL24rocblas_symm_hemm_kernelILb0ELb1ELi32EfPKPKfPKPfEvbiiT2_T3_lllS8_lllT4_llli
                                        ; -- End function
	.set _ZL24rocblas_symm_hemm_kernelILb0ELb1ELi32EfPKPKfPKPfEvbiiT2_T3_lllS8_lllT4_llli.num_vgpr, 30
	.set _ZL24rocblas_symm_hemm_kernelILb0ELb1ELi32EfPKPKfPKPfEvbiiT2_T3_lllS8_lllT4_llli.num_agpr, 0
	.set _ZL24rocblas_symm_hemm_kernelILb0ELb1ELi32EfPKPKfPKPfEvbiiT2_T3_lllS8_lllT4_llli.numbered_sgpr, 32
	.set _ZL24rocblas_symm_hemm_kernelILb0ELb1ELi32EfPKPKfPKPfEvbiiT2_T3_lllS8_lllT4_llli.num_named_barrier, 0
	.set _ZL24rocblas_symm_hemm_kernelILb0ELb1ELi32EfPKPKfPKPfEvbiiT2_T3_lllS8_lllT4_llli.private_seg_size, 0
	.set _ZL24rocblas_symm_hemm_kernelILb0ELb1ELi32EfPKPKfPKPfEvbiiT2_T3_lllS8_lllT4_llli.uses_vcc, 1
	.set _ZL24rocblas_symm_hemm_kernelILb0ELb1ELi32EfPKPKfPKPfEvbiiT2_T3_lllS8_lllT4_llli.uses_flat_scratch, 0
	.set _ZL24rocblas_symm_hemm_kernelILb0ELb1ELi32EfPKPKfPKPfEvbiiT2_T3_lllS8_lllT4_llli.has_dyn_sized_stack, 0
	.set _ZL24rocblas_symm_hemm_kernelILb0ELb1ELi32EfPKPKfPKPfEvbiiT2_T3_lllS8_lllT4_llli.has_recursion, 0
	.set _ZL24rocblas_symm_hemm_kernelILb0ELb1ELi32EfPKPKfPKPfEvbiiT2_T3_lllS8_lllT4_llli.has_indirect_call, 0
	.section	.AMDGPU.csdata,"",@progbits
; Kernel info:
; codeLenInByte = 1132
; TotalNumSgprs: 36
; NumVgprs: 30
; ScratchSize: 0
; MemoryBound: 0
; FloatMode: 240
; IeeeMode: 1
; LDSByteSize: 8192 bytes/workgroup (compile time only)
; SGPRBlocks: 8
; VGPRBlocks: 7
; NumSGPRsForWavesPerEU: 65
; NumVGPRsForWavesPerEU: 30
; Occupancy: 8
; WaveLimiterHint : 1
; COMPUTE_PGM_RSRC2:SCRATCH_EN: 0
; COMPUTE_PGM_RSRC2:USER_SGPR: 6
; COMPUTE_PGM_RSRC2:TRAP_HANDLER: 0
; COMPUTE_PGM_RSRC2:TGID_X_EN: 1
; COMPUTE_PGM_RSRC2:TGID_Y_EN: 1
; COMPUTE_PGM_RSRC2:TGID_Z_EN: 1
; COMPUTE_PGM_RSRC2:TIDIG_COMP_CNT: 1
	.section	.text._ZL25rocblas_symm_scale_kernelILi128ELi8EPKdPKPdEviiT1_T2_llli,"axG",@progbits,_ZL25rocblas_symm_scale_kernelILi128ELi8EPKdPKPdEviiT1_T2_llli,comdat
	.globl	_ZL25rocblas_symm_scale_kernelILi128ELi8EPKdPKPdEviiT1_T2_llli ; -- Begin function _ZL25rocblas_symm_scale_kernelILi128ELi8EPKdPKPdEviiT1_T2_llli
	.p2align	8
	.type	_ZL25rocblas_symm_scale_kernelILi128ELi8EPKdPKPdEviiT1_T2_llli,@function
_ZL25rocblas_symm_scale_kernelILi128ELi8EPKdPKPdEviiT1_T2_llli: ; @_ZL25rocblas_symm_scale_kernelILi128ELi8EPKdPKPdEviiT1_T2_llli
; %bb.0:
	s_load_dwordx8 s[12:19], s[4:5], 0x8
	s_waitcnt lgkmcnt(0)
	s_load_dwordx2 s[2:3], s[12:13], 0x0
	s_waitcnt lgkmcnt(0)
	v_cmp_eq_f64_e64 s[0:1], s[2:3], 1.0
	s_and_b64 vcc, exec, s[0:1]
	s_cbranch_vccnz .LBB38_7
; %bb.1:
	s_load_dwordx2 s[0:1], s[4:5], 0x0
	v_lshl_add_u32 v2, s6, 7, v0
	v_lshl_add_u32 v0, s7, 3, v1
	v_mov_b32_e32 v1, 0
	s_waitcnt lgkmcnt(0)
	s_ashr_i32 s7, s1, 31
	s_mov_b32 s6, s1
	v_cmp_gt_i64_e32 vcc, s[6:7], v[0:1]
	v_cmp_gt_u32_e64 s[0:1], s0, v2
	s_and_b64 s[0:1], s[0:1], vcc
	s_and_saveexec_b64 s[10:11], s[0:1]
	s_cbranch_execz .LBB38_7
; %bb.2:
	s_mov_b32 s9, 0
	s_lshl_b64 s[0:1], s[8:9], 3
	v_mad_u64_u32 v[4:5], s[8:9], s18, v0, 0
	s_add_u32 s0, s14, s0
	s_addc_u32 s1, s15, s1
	v_mov_b32_e32 v3, v5
	s_load_dwordx2 s[8:9], s[0:1], 0x0
	s_load_dword s10, s[4:5], 0x3c
	v_mad_u64_u32 v[5:6], s[0:1], s19, v0, v[3:4]
	v_mov_b32_e32 v3, v1
	s_lshl_b64 s[0:1], s[16:17], 3
	v_lshlrev_b64 v[4:5], 3, v[4:5]
	v_mov_b32_e32 v6, s1
	v_add_co_u32_e32 v4, vcc, s0, v4
	v_lshlrev_b64 v[2:3], 3, v[2:3]
	s_waitcnt lgkmcnt(0)
	s_lshl_b32 s10, s10, 3
	v_addc_co_u32_e32 v5, vcc, v5, v6, vcc
	v_add_co_u32_e32 v2, vcc, v4, v2
	s_mul_i32 s0, s19, s10
	s_mul_hi_u32 s1, s18, s10
	v_addc_co_u32_e32 v3, vcc, v5, v3, vcc
	s_add_i32 s1, s1, s0
	s_mul_i32 s0, s18, s10
	v_mov_b32_e32 v4, s9
	v_add_co_u32_e32 v2, vcc, s8, v2
	s_lshl_b64 s[8:9], s[0:1], 3
	v_cmp_neq_f64_e64 s[0:1], s[2:3], 0
	v_addc_co_u32_e32 v3, vcc, v4, v3, vcc
	s_mov_b64 s[4:5], 0
	v_mov_b32_e32 v6, s9
	v_cndmask_b32_e64 v4, 0, 1, s[0:1]
	v_cmp_ne_u32_e64 s[0:1], 1, v4
	s_branch .LBB38_5
.LBB38_3:                               ;   in Loop: Header=BB38_5 Depth=1
	flat_load_dwordx2 v[4:5], v[2:3]
	s_waitcnt vmcnt(0) lgkmcnt(0)
	v_mul_f64 v[4:5], s[2:3], v[4:5]
.LBB38_4:                               ;   in Loop: Header=BB38_5 Depth=1
	v_add_co_u32_e32 v0, vcc, s10, v0
	v_addc_co_u32_e32 v1, vcc, 0, v1, vcc
	v_cmp_le_i64_e32 vcc, s[6:7], v[0:1]
	flat_store_dwordx2 v[2:3], v[4:5]
	s_or_b64 s[4:5], vcc, s[4:5]
	v_add_co_u32_e32 v2, vcc, s8, v2
	v_addc_co_u32_e32 v3, vcc, v3, v6, vcc
	s_andn2_b64 exec, exec, s[4:5]
	s_cbranch_execz .LBB38_7
.LBB38_5:                               ; =>This Inner Loop Header: Depth=1
	s_and_b64 vcc, exec, s[0:1]
	s_cbranch_vccz .LBB38_3
; %bb.6:                                ;   in Loop: Header=BB38_5 Depth=1
	v_mov_b32_e32 v4, 0
	v_mov_b32_e32 v5, 0
	s_branch .LBB38_4
.LBB38_7:
	s_endpgm
	.section	.rodata,"a",@progbits
	.p2align	6, 0x0
	.amdhsa_kernel _ZL25rocblas_symm_scale_kernelILi128ELi8EPKdPKPdEviiT1_T2_llli
		.amdhsa_group_segment_fixed_size 0
		.amdhsa_private_segment_fixed_size 0
		.amdhsa_kernarg_size 312
		.amdhsa_user_sgpr_count 6
		.amdhsa_user_sgpr_private_segment_buffer 1
		.amdhsa_user_sgpr_dispatch_ptr 0
		.amdhsa_user_sgpr_queue_ptr 0
		.amdhsa_user_sgpr_kernarg_segment_ptr 1
		.amdhsa_user_sgpr_dispatch_id 0
		.amdhsa_user_sgpr_flat_scratch_init 0
		.amdhsa_user_sgpr_private_segment_size 0
		.amdhsa_uses_dynamic_stack 0
		.amdhsa_system_sgpr_private_segment_wavefront_offset 0
		.amdhsa_system_sgpr_workgroup_id_x 1
		.amdhsa_system_sgpr_workgroup_id_y 1
		.amdhsa_system_sgpr_workgroup_id_z 1
		.amdhsa_system_sgpr_workgroup_info 0
		.amdhsa_system_vgpr_workitem_id 1
		.amdhsa_next_free_vgpr 7
		.amdhsa_next_free_sgpr 20
		.amdhsa_reserve_vcc 1
		.amdhsa_reserve_flat_scratch 0
		.amdhsa_float_round_mode_32 0
		.amdhsa_float_round_mode_16_64 0
		.amdhsa_float_denorm_mode_32 3
		.amdhsa_float_denorm_mode_16_64 3
		.amdhsa_dx10_clamp 1
		.amdhsa_ieee_mode 1
		.amdhsa_fp16_overflow 0
		.amdhsa_exception_fp_ieee_invalid_op 0
		.amdhsa_exception_fp_denorm_src 0
		.amdhsa_exception_fp_ieee_div_zero 0
		.amdhsa_exception_fp_ieee_overflow 0
		.amdhsa_exception_fp_ieee_underflow 0
		.amdhsa_exception_fp_ieee_inexact 0
		.amdhsa_exception_int_div_zero 0
	.end_amdhsa_kernel
	.section	.text._ZL25rocblas_symm_scale_kernelILi128ELi8EPKdPKPdEviiT1_T2_llli,"axG",@progbits,_ZL25rocblas_symm_scale_kernelILi128ELi8EPKdPKPdEviiT1_T2_llli,comdat
.Lfunc_end38:
	.size	_ZL25rocblas_symm_scale_kernelILi128ELi8EPKdPKPdEviiT1_T2_llli, .Lfunc_end38-_ZL25rocblas_symm_scale_kernelILi128ELi8EPKdPKPdEviiT1_T2_llli
                                        ; -- End function
	.set _ZL25rocblas_symm_scale_kernelILi128ELi8EPKdPKPdEviiT1_T2_llli.num_vgpr, 7
	.set _ZL25rocblas_symm_scale_kernelILi128ELi8EPKdPKPdEviiT1_T2_llli.num_agpr, 0
	.set _ZL25rocblas_symm_scale_kernelILi128ELi8EPKdPKPdEviiT1_T2_llli.numbered_sgpr, 20
	.set _ZL25rocblas_symm_scale_kernelILi128ELi8EPKdPKPdEviiT1_T2_llli.num_named_barrier, 0
	.set _ZL25rocblas_symm_scale_kernelILi128ELi8EPKdPKPdEviiT1_T2_llli.private_seg_size, 0
	.set _ZL25rocblas_symm_scale_kernelILi128ELi8EPKdPKPdEviiT1_T2_llli.uses_vcc, 1
	.set _ZL25rocblas_symm_scale_kernelILi128ELi8EPKdPKPdEviiT1_T2_llli.uses_flat_scratch, 0
	.set _ZL25rocblas_symm_scale_kernelILi128ELi8EPKdPKPdEviiT1_T2_llli.has_dyn_sized_stack, 0
	.set _ZL25rocblas_symm_scale_kernelILi128ELi8EPKdPKPdEviiT1_T2_llli.has_recursion, 0
	.set _ZL25rocblas_symm_scale_kernelILi128ELi8EPKdPKPdEviiT1_T2_llli.has_indirect_call, 0
	.section	.AMDGPU.csdata,"",@progbits
; Kernel info:
; codeLenInByte = 360
; TotalNumSgprs: 24
; NumVgprs: 7
; ScratchSize: 0
; MemoryBound: 1
; FloatMode: 240
; IeeeMode: 1
; LDSByteSize: 0 bytes/workgroup (compile time only)
; SGPRBlocks: 2
; VGPRBlocks: 1
; NumSGPRsForWavesPerEU: 24
; NumVGPRsForWavesPerEU: 7
; Occupancy: 10
; WaveLimiterHint : 0
; COMPUTE_PGM_RSRC2:SCRATCH_EN: 0
; COMPUTE_PGM_RSRC2:USER_SGPR: 6
; COMPUTE_PGM_RSRC2:TRAP_HANDLER: 0
; COMPUTE_PGM_RSRC2:TGID_X_EN: 1
; COMPUTE_PGM_RSRC2:TGID_Y_EN: 1
; COMPUTE_PGM_RSRC2:TGID_Z_EN: 1
; COMPUTE_PGM_RSRC2:TIDIG_COMP_CNT: 1
	.section	.text._ZL24rocblas_symm_hemm_kernelILb0ELb0ELi32EPKdPKS1_PKPdEvbiiT2_T3_lllS8_lllT4_llli,"axG",@progbits,_ZL24rocblas_symm_hemm_kernelILb0ELb0ELi32EPKdPKS1_PKPdEvbiiT2_T3_lllS8_lllT4_llli,comdat
	.globl	_ZL24rocblas_symm_hemm_kernelILb0ELb0ELi32EPKdPKS1_PKPdEvbiiT2_T3_lllS8_lllT4_llli ; -- Begin function _ZL24rocblas_symm_hemm_kernelILb0ELb0ELi32EPKdPKS1_PKPdEvbiiT2_T3_lllS8_lllT4_llli
	.p2align	8
	.type	_ZL24rocblas_symm_hemm_kernelILb0ELb0ELi32EPKdPKS1_PKPdEvbiiT2_T3_lllS8_lllT4_llli,@function
_ZL24rocblas_symm_hemm_kernelILb0ELb0ELi32EPKdPKS1_PKPdEvbiiT2_T3_lllS8_lllT4_llli: ; @_ZL24rocblas_symm_hemm_kernelILb0ELb0ELi32EPKdPKS1_PKPdEvbiiT2_T3_lllS8_lllT4_llli
; %bb.0:
	s_load_dwordx8 s[12:19], s[4:5], 0x10
	s_waitcnt lgkmcnt(0)
	s_load_dwordx2 s[10:11], s[12:13], 0x0
	s_waitcnt lgkmcnt(0)
	v_cmp_eq_f64_e64 s[0:1], s[10:11], 0
	s_and_b64 vcc, exec, s[0:1]
	s_cbranch_vccnz .LBB39_13
; %bb.1:
	s_load_dwordx4 s[20:23], s[4:5], 0x0
	s_waitcnt lgkmcnt(0)
	s_add_i32 s0, s22, -1
	s_ashr_i32 s1, s0, 31
	s_lshr_b32 s1, s1, 27
	s_add_i32 s0, s0, s1
	s_ashr_i32 s23, s0, 5
	s_cmp_gt_i32 s7, s23
	s_cbranch_scc1 .LBB39_13
; %bb.2:
	s_mov_b32 s9, 0
	s_lshl_b64 s[8:9], s[8:9], 3
	s_add_u32 s14, s14, s8
	s_addc_u32 s15, s15, s9
	s_load_dwordx2 s[24:25], s[14:15], 0x0
	s_load_dwordx4 s[0:3], s[4:5], 0x38
	s_load_dwordx2 s[12:13], s[4:5], 0x48
	s_lshl_b64 s[14:15], s[16:17], 3
	v_lshl_add_u32 v2, s6, 5, v0
	s_waitcnt lgkmcnt(0)
	s_add_u32 s26, s24, s14
	s_addc_u32 s27, s25, s15
	s_add_u32 s0, s0, s8
	s_addc_u32 s1, s1, s9
	s_load_dwordx2 s[16:17], s[0:1], 0x0
	s_load_dwordx4 s[36:39], s[4:5], 0x58
	s_load_dwordx2 s[14:15], s[4:5], 0x68
	s_lshl_b64 s[0:1], s[2:3], 3
	v_lshlrev_b32_e32 v10, 8, v0
	s_waitcnt lgkmcnt(0)
	s_add_u32 s6, s16, s0
	s_addc_u32 s28, s17, s1
	s_add_u32 s0, s36, s8
	s_addc_u32 s1, s37, s9
	s_load_dwordx2 s[2:3], s[0:1], 0x0
	s_bitcmp1_b32 s20, 0
	s_cselect_b64 s[0:1], -1, 0
	s_lshl_b64 s[8:9], s[38:39], 3
	v_lshlrev_b32_e32 v3, 3, v1
	s_waitcnt lgkmcnt(0)
	s_add_u32 s8, s2, s8
	s_addc_u32 s9, s3, s9
	v_add_u32_e32 v11, v10, v3
	v_or_b32_e32 v12, 0x2000, v3
	v_ashrrev_i32_e32 v3, 31, v2
	s_load_dword s20, s[4:5], 0x84
	s_cmp_gt_i32 s21, 0
	v_lshlrev_b64 v[3:4], 3, v[2:3]
	s_cselect_b64 s[4:5], -1, 0
	v_mov_b32_e32 v5, s9
	v_add_co_u32_e32 v14, vcc, s8, v3
	v_cndmask_b32_e64 v3, 0, 1, s[4:5]
	v_add_u32_e32 v13, v12, v10
	v_cmp_gt_i32_e64 s[2:3], s21, v2
	v_addc_co_u32_e32 v15, vcc, v5, v4, vcc
	v_cmp_ne_u32_e64 s[4:5], 1, v3
	v_add_u32_e32 v16, 0x800, v12
	v_add_u32_e32 v17, 0x1000, v12
	;; [unrolled: 1-line block ×3, first 2 shown]
	s_branch .LBB39_4
.LBB39_3:                               ;   in Loop: Header=BB39_4 Depth=1
	s_waitcnt lgkmcnt(0)
	s_add_i32 s7, s7, s20
	s_cmp_gt_i32 s7, s23
	s_cbranch_scc1 .LBB39_13
.LBB39_4:                               ; =>This Loop Header: Depth=1
                                        ;     Child Loop BB39_7 Depth 2
	s_and_b64 vcc, exec, s[4:5]
	s_cbranch_vccnz .LBB39_3
; %bb.5:                                ;   in Loop: Header=BB39_4 Depth=1
	v_lshl_add_u32 v5, s7, 5, v1
	v_ashrrev_i32_e32 v6, 31, v5
	v_mul_lo_u32 v7, s12, v6
	v_mul_lo_u32 v8, s13, v5
	v_mad_u64_u32 v[3:4], s[8:9], s12, v5, 0
	v_cmp_gt_i32_e32 vcc, s22, v5
	v_mul_lo_u32 v9, s15, v5
	v_add3_u32 v4, v4, v7, v8
	v_mul_lo_u32 v8, s14, v6
	v_mad_u64_u32 v[5:6], s[8:9], s14, v5, 0
	v_lshlrev_b64 v[3:4], 3, v[3:4]
	v_mov_b32_e32 v7, s28
	v_add_co_u32_e64 v19, s[8:9], s6, v3
	v_add3_u32 v6, v6, v8, v9
	v_addc_co_u32_e64 v20, s[8:9], v7, v4, s[8:9]
	v_lshlrev_b64 v[3:4], 3, v[5:6]
	s_and_b64 s[16:17], s[2:3], vcc
	v_add_co_u32_e64 v3, s[8:9], v14, v3
	v_addc_co_u32_e64 v4, s[8:9], v15, v4, s[8:9]
	s_mov_b32 s29, 0
	s_branch .LBB39_7
.LBB39_6:                               ;   in Loop: Header=BB39_7 Depth=2
	s_or_b64 exec, exec, s[8:9]
	s_add_i32 s29, s29, 32
	s_cmp_ge_i32 s29, s21
	s_waitcnt vmcnt(0) lgkmcnt(0)
	s_barrier
	s_cbranch_scc1 .LBB39_3
.LBB39_7:                               ;   Parent Loop BB39_4 Depth=1
                                        ; =>  This Inner Loop Header: Depth=2
	v_add_u32_e32 v5, s29, v1
	v_cndmask_b32_e64 v6, v5, v2, s[0:1]
	v_cndmask_b32_e64 v7, v2, v5, s[0:1]
	v_cmp_gt_i32_e64 s[8:9], v6, v7
	v_cndmask_b32_e64 v7, v2, v5, s[8:9]
	v_cndmask_b32_e64 v21, v5, v2, s[8:9]
	v_max_i32_e32 v22, v7, v21
	v_mov_b32_e32 v5, 0
	v_mov_b32_e32 v8, 0
	;; [unrolled: 1-line block ×4, first 2 shown]
	v_cmp_gt_i32_e64 s[8:9], s21, v22
	s_and_saveexec_b64 s[24:25], s[8:9]
	s_cbranch_execz .LBB39_9
; %bb.8:                                ;   in Loop: Header=BB39_7 Depth=2
	v_ashrrev_i32_e32 v8, 31, v21
	v_mul_lo_u32 v9, s19, v21
	v_mad_u64_u32 v[21:22], s[8:9], s18, v21, 0
	v_mul_lo_u32 v8, s18, v8
	v_add3_u32 v22, v22, v8, v9
	v_lshlrev_b64 v[21:22], 3, v[21:22]
	v_ashrrev_i32_e32 v8, 31, v7
	v_mov_b32_e32 v9, s27
	v_add_co_u32_e64 v21, s[8:9], s26, v21
	v_lshlrev_b64 v[7:8], 3, v[7:8]
	v_addc_co_u32_e64 v9, s[8:9], v9, v22, s[8:9]
	v_add_co_u32_e64 v7, s[8:9], v21, v7
	v_addc_co_u32_e64 v8, s[8:9], v9, v8, s[8:9]
	flat_load_dwordx2 v[8:9], v[7:8]
.LBB39_9:                               ;   in Loop: Header=BB39_7 Depth=2
	s_or_b64 exec, exec, s[24:25]
	v_add_u32_e32 v7, s29, v0
	v_cmp_gt_i32_e64 s[8:9], s21, v7
	s_and_b64 s[8:9], s[8:9], vcc
	s_waitcnt vmcnt(0) lgkmcnt(0)
	ds_write_b64 v11, v[8:9]
	s_and_saveexec_b64 s[24:25], s[8:9]
	s_cbranch_execz .LBB39_11
; %bb.10:                               ;   in Loop: Header=BB39_7 Depth=2
	v_ashrrev_i32_e32 v8, 31, v7
	v_lshlrev_b64 v[5:6], 3, v[7:8]
	v_add_co_u32_e64 v5, s[8:9], v19, v5
	v_addc_co_u32_e64 v6, s[8:9], v20, v6, s[8:9]
	flat_load_dwordx2 v[5:6], v[5:6]
.LBB39_11:                              ;   in Loop: Header=BB39_7 Depth=2
	s_or_b64 exec, exec, s[24:25]
	s_waitcnt vmcnt(0) lgkmcnt(0)
	ds_write_b64 v13, v[5:6]
	s_waitcnt lgkmcnt(0)
	s_barrier
	s_and_saveexec_b64 s[8:9], s[16:17]
	s_cbranch_execz .LBB39_6
; %bb.12:                               ;   in Loop: Header=BB39_7 Depth=2
	ds_read2_b64 v[5:8], v12 offset1:32
	ds_read_b128 v[21:24], v10
	s_waitcnt lgkmcnt(0)
	v_fma_f64 v[5:6], v[21:22], v[5:6], 0
	v_fma_f64 v[25:26], v[23:24], v[7:8], v[5:6]
	ds_read_b128 v[5:8], v10 offset:16
	ds_read2_b64 v[21:24], v12 offset0:64 offset1:96
	s_waitcnt lgkmcnt(0)
	v_fma_f64 v[5:6], v[5:6], v[21:22], v[25:26]
	v_fma_f64 v[25:26], v[7:8], v[23:24], v[5:6]
	ds_read2_b64 v[5:8], v12 offset0:128 offset1:160
	ds_read_b128 v[21:24], v10 offset:32
	s_waitcnt lgkmcnt(0)
	v_fma_f64 v[5:6], v[21:22], v[5:6], v[25:26]
	v_fma_f64 v[25:26], v[23:24], v[7:8], v[5:6]
	ds_read_b128 v[5:8], v10 offset:48
	ds_read2_b64 v[21:24], v12 offset0:192 offset1:224
	s_waitcnt lgkmcnt(0)
	v_fma_f64 v[5:6], v[5:6], v[21:22], v[25:26]
	v_fma_f64 v[25:26], v[7:8], v[23:24], v[5:6]
	ds_read2_b64 v[5:8], v16 offset1:32
	ds_read_b128 v[21:24], v10 offset:64
	s_waitcnt lgkmcnt(0)
	v_fma_f64 v[5:6], v[21:22], v[5:6], v[25:26]
	v_fma_f64 v[25:26], v[23:24], v[7:8], v[5:6]
	ds_read_b128 v[5:8], v10 offset:80
	ds_read2_b64 v[21:24], v16 offset0:64 offset1:96
	s_waitcnt lgkmcnt(0)
	v_fma_f64 v[5:6], v[5:6], v[21:22], v[25:26]
	v_fma_f64 v[25:26], v[7:8], v[23:24], v[5:6]
	ds_read2_b64 v[5:8], v16 offset0:128 offset1:160
	ds_read_b128 v[21:24], v10 offset:96
	s_waitcnt lgkmcnt(0)
	v_fma_f64 v[5:6], v[21:22], v[5:6], v[25:26]
	v_fma_f64 v[25:26], v[23:24], v[7:8], v[5:6]
	ds_read_b128 v[5:8], v10 offset:112
	ds_read2_b64 v[21:24], v16 offset0:192 offset1:224
	s_waitcnt lgkmcnt(0)
	v_fma_f64 v[5:6], v[5:6], v[21:22], v[25:26]
	v_fma_f64 v[25:26], v[7:8], v[23:24], v[5:6]
	ds_read2_b64 v[5:8], v17 offset1:32
	ds_read_b128 v[21:24], v10 offset:128
	s_waitcnt lgkmcnt(0)
	v_fma_f64 v[5:6], v[21:22], v[5:6], v[25:26]
	v_fma_f64 v[25:26], v[23:24], v[7:8], v[5:6]
	ds_read_b128 v[5:8], v10 offset:144
	ds_read2_b64 v[21:24], v17 offset0:64 offset1:96
	s_waitcnt lgkmcnt(0)
	v_fma_f64 v[5:6], v[5:6], v[21:22], v[25:26]
	v_fma_f64 v[25:26], v[7:8], v[23:24], v[5:6]
	ds_read2_b64 v[5:8], v17 offset0:128 offset1:160
	ds_read_b128 v[21:24], v10 offset:160
	s_waitcnt lgkmcnt(0)
	v_fma_f64 v[5:6], v[21:22], v[5:6], v[25:26]
	v_fma_f64 v[25:26], v[23:24], v[7:8], v[5:6]
	ds_read_b128 v[5:8], v10 offset:176
	ds_read2_b64 v[21:24], v17 offset0:192 offset1:224
	s_waitcnt lgkmcnt(0)
	v_fma_f64 v[5:6], v[5:6], v[21:22], v[25:26]
	flat_load_dwordx2 v[25:26], v[3:4]
	v_fma_f64 v[27:28], v[7:8], v[23:24], v[5:6]
	ds_read2_b64 v[5:8], v18 offset1:32
	ds_read_b128 v[21:24], v10 offset:192
	s_waitcnt lgkmcnt(0)
	v_fma_f64 v[5:6], v[21:22], v[5:6], v[27:28]
	v_fma_f64 v[27:28], v[23:24], v[7:8], v[5:6]
	ds_read_b128 v[5:8], v10 offset:208
	ds_read2_b64 v[21:24], v18 offset0:64 offset1:96
	s_waitcnt lgkmcnt(0)
	v_fma_f64 v[5:6], v[5:6], v[21:22], v[27:28]
	v_fma_f64 v[27:28], v[7:8], v[23:24], v[5:6]
	ds_read2_b64 v[5:8], v18 offset0:128 offset1:160
	ds_read_b128 v[21:24], v10 offset:224
	s_waitcnt lgkmcnt(0)
	v_fma_f64 v[5:6], v[21:22], v[5:6], v[27:28]
	v_fma_f64 v[27:28], v[23:24], v[7:8], v[5:6]
	ds_read_b128 v[5:8], v10 offset:240
	ds_read2_b64 v[21:24], v18 offset0:192 offset1:224
	s_waitcnt lgkmcnt(0)
	v_fma_f64 v[5:6], v[5:6], v[21:22], v[27:28]
	v_fma_f64 v[5:6], v[7:8], v[23:24], v[5:6]
	s_waitcnt vmcnt(0)
	v_fma_f64 v[5:6], s[10:11], v[5:6], v[25:26]
	flat_store_dwordx2 v[3:4], v[5:6]
	s_branch .LBB39_6
.LBB39_13:
	s_endpgm
	.section	.rodata,"a",@progbits
	.p2align	6, 0x0
	.amdhsa_kernel _ZL24rocblas_symm_hemm_kernelILb0ELb0ELi32EPKdPKS1_PKPdEvbiiT2_T3_lllS8_lllT4_llli
		.amdhsa_group_segment_fixed_size 16384
		.amdhsa_private_segment_fixed_size 0
		.amdhsa_kernarg_size 384
		.amdhsa_user_sgpr_count 6
		.amdhsa_user_sgpr_private_segment_buffer 1
		.amdhsa_user_sgpr_dispatch_ptr 0
		.amdhsa_user_sgpr_queue_ptr 0
		.amdhsa_user_sgpr_kernarg_segment_ptr 1
		.amdhsa_user_sgpr_dispatch_id 0
		.amdhsa_user_sgpr_flat_scratch_init 0
		.amdhsa_user_sgpr_private_segment_size 0
		.amdhsa_uses_dynamic_stack 0
		.amdhsa_system_sgpr_private_segment_wavefront_offset 0
		.amdhsa_system_sgpr_workgroup_id_x 1
		.amdhsa_system_sgpr_workgroup_id_y 1
		.amdhsa_system_sgpr_workgroup_id_z 1
		.amdhsa_system_sgpr_workgroup_info 0
		.amdhsa_system_vgpr_workitem_id 1
		.amdhsa_next_free_vgpr 29
		.amdhsa_next_free_sgpr 61
		.amdhsa_reserve_vcc 1
		.amdhsa_reserve_flat_scratch 0
		.amdhsa_float_round_mode_32 0
		.amdhsa_float_round_mode_16_64 0
		.amdhsa_float_denorm_mode_32 3
		.amdhsa_float_denorm_mode_16_64 3
		.amdhsa_dx10_clamp 1
		.amdhsa_ieee_mode 1
		.amdhsa_fp16_overflow 0
		.amdhsa_exception_fp_ieee_invalid_op 0
		.amdhsa_exception_fp_denorm_src 0
		.amdhsa_exception_fp_ieee_div_zero 0
		.amdhsa_exception_fp_ieee_overflow 0
		.amdhsa_exception_fp_ieee_underflow 0
		.amdhsa_exception_fp_ieee_inexact 0
		.amdhsa_exception_int_div_zero 0
	.end_amdhsa_kernel
	.section	.text._ZL24rocblas_symm_hemm_kernelILb0ELb0ELi32EPKdPKS1_PKPdEvbiiT2_T3_lllS8_lllT4_llli,"axG",@progbits,_ZL24rocblas_symm_hemm_kernelILb0ELb0ELi32EPKdPKS1_PKPdEvbiiT2_T3_lllS8_lllT4_llli,comdat
.Lfunc_end39:
	.size	_ZL24rocblas_symm_hemm_kernelILb0ELb0ELi32EPKdPKS1_PKPdEvbiiT2_T3_lllS8_lllT4_llli, .Lfunc_end39-_ZL24rocblas_symm_hemm_kernelILb0ELb0ELi32EPKdPKS1_PKPdEvbiiT2_T3_lllS8_lllT4_llli
                                        ; -- End function
	.set _ZL24rocblas_symm_hemm_kernelILb0ELb0ELi32EPKdPKS1_PKPdEvbiiT2_T3_lllS8_lllT4_llli.num_vgpr, 29
	.set _ZL24rocblas_symm_hemm_kernelILb0ELb0ELi32EPKdPKS1_PKPdEvbiiT2_T3_lllS8_lllT4_llli.num_agpr, 0
	.set _ZL24rocblas_symm_hemm_kernelILb0ELb0ELi32EPKdPKS1_PKPdEvbiiT2_T3_lllS8_lllT4_llli.numbered_sgpr, 40
	.set _ZL24rocblas_symm_hemm_kernelILb0ELb0ELi32EPKdPKS1_PKPdEvbiiT2_T3_lllS8_lllT4_llli.num_named_barrier, 0
	.set _ZL24rocblas_symm_hemm_kernelILb0ELb0ELi32EPKdPKS1_PKPdEvbiiT2_T3_lllS8_lllT4_llli.private_seg_size, 0
	.set _ZL24rocblas_symm_hemm_kernelILb0ELb0ELi32EPKdPKS1_PKPdEvbiiT2_T3_lllS8_lllT4_llli.uses_vcc, 1
	.set _ZL24rocblas_symm_hemm_kernelILb0ELb0ELi32EPKdPKS1_PKPdEvbiiT2_T3_lllS8_lllT4_llli.uses_flat_scratch, 0
	.set _ZL24rocblas_symm_hemm_kernelILb0ELb0ELi32EPKdPKS1_PKPdEvbiiT2_T3_lllS8_lllT4_llli.has_dyn_sized_stack, 0
	.set _ZL24rocblas_symm_hemm_kernelILb0ELb0ELi32EPKdPKS1_PKPdEvbiiT2_T3_lllS8_lllT4_llli.has_recursion, 0
	.set _ZL24rocblas_symm_hemm_kernelILb0ELb0ELi32EPKdPKS1_PKPdEvbiiT2_T3_lllS8_lllT4_llli.has_indirect_call, 0
	.section	.AMDGPU.csdata,"",@progbits
; Kernel info:
; codeLenInByte = 1440
; TotalNumSgprs: 44
; NumVgprs: 29
; ScratchSize: 0
; MemoryBound: 0
; FloatMode: 240
; IeeeMode: 1
; LDSByteSize: 16384 bytes/workgroup (compile time only)
; SGPRBlocks: 8
; VGPRBlocks: 7
; NumSGPRsForWavesPerEU: 65
; NumVGPRsForWavesPerEU: 29
; Occupancy: 8
; WaveLimiterHint : 1
; COMPUTE_PGM_RSRC2:SCRATCH_EN: 0
; COMPUTE_PGM_RSRC2:USER_SGPR: 6
; COMPUTE_PGM_RSRC2:TRAP_HANDLER: 0
; COMPUTE_PGM_RSRC2:TGID_X_EN: 1
; COMPUTE_PGM_RSRC2:TGID_Y_EN: 1
; COMPUTE_PGM_RSRC2:TGID_Z_EN: 1
; COMPUTE_PGM_RSRC2:TIDIG_COMP_CNT: 1
	.section	.text._ZL24rocblas_symm_hemm_kernelILb0ELb1ELi32EPKdPKS1_PKPdEvbiiT2_T3_lllS8_lllT4_llli,"axG",@progbits,_ZL24rocblas_symm_hemm_kernelILb0ELb1ELi32EPKdPKS1_PKPdEvbiiT2_T3_lllS8_lllT4_llli,comdat
	.globl	_ZL24rocblas_symm_hemm_kernelILb0ELb1ELi32EPKdPKS1_PKPdEvbiiT2_T3_lllS8_lllT4_llli ; -- Begin function _ZL24rocblas_symm_hemm_kernelILb0ELb1ELi32EPKdPKS1_PKPdEvbiiT2_T3_lllS8_lllT4_llli
	.p2align	8
	.type	_ZL24rocblas_symm_hemm_kernelILb0ELb1ELi32EPKdPKS1_PKPdEvbiiT2_T3_lllS8_lllT4_llli,@function
_ZL24rocblas_symm_hemm_kernelILb0ELb1ELi32EPKdPKS1_PKPdEvbiiT2_T3_lllS8_lllT4_llli: ; @_ZL24rocblas_symm_hemm_kernelILb0ELb1ELi32EPKdPKS1_PKPdEvbiiT2_T3_lllS8_lllT4_llli
; %bb.0:
	s_load_dwordx8 s[12:19], s[4:5], 0x10
	s_waitcnt lgkmcnt(0)
	s_load_dwordx2 s[10:11], s[12:13], 0x0
	s_waitcnt lgkmcnt(0)
	v_cmp_eq_f64_e64 s[0:1], s[10:11], 0
	s_and_b64 vcc, exec, s[0:1]
	s_cbranch_vccnz .LBB40_13
; %bb.1:
	s_load_dwordx4 s[20:23], s[4:5], 0x0
	s_waitcnt lgkmcnt(0)
	s_add_i32 s0, s22, -1
	s_ashr_i32 s1, s0, 31
	s_lshr_b32 s1, s1, 27
	s_add_i32 s0, s0, s1
	s_ashr_i32 s23, s0, 5
	s_cmp_gt_i32 s7, s23
	s_cbranch_scc1 .LBB40_13
; %bb.2:
	s_mov_b32 s9, 0
	s_lshl_b64 s[26:27], s[8:9], 3
	s_add_u32 s14, s14, s26
	s_addc_u32 s15, s15, s27
	s_load_dwordx2 s[24:25], s[14:15], 0x0
	s_load_dwordx4 s[0:3], s[4:5], 0x38
	s_load_dwordx2 s[8:9], s[4:5], 0x48
	s_load_dwordx4 s[28:31], s[4:5], 0x58
	s_load_dwordx2 s[12:13], s[4:5], 0x68
	s_lshl_b64 s[14:15], s[16:17], 3
	s_waitcnt lgkmcnt(0)
	s_add_u32 s24, s24, s14
	s_addc_u32 s25, s25, s15
	s_add_u32 s0, s0, s26
	s_addc_u32 s1, s1, s27
	;; [unrolled: 2-line block ×3, first 2 shown]
	s_load_dwordx2 s[16:17], s[14:15], 0x0
	s_load_dwordx2 s[26:27], s[0:1], 0x0
	s_bitcmp1_b32 s20, 0
	s_cselect_b64 s[0:1], -1, 0
	s_lshl_b64 s[14:15], s[30:31], 3
	s_waitcnt lgkmcnt(0)
	s_add_u32 s14, s16, s14
	s_addc_u32 s15, s17, s15
	s_lshl_b64 s[2:3], s[2:3], 3
	v_lshl_add_u32 v2, s6, 5, v0
	s_add_u32 s16, s26, s2
	v_ashrrev_i32_e32 v3, 31, v2
	s_addc_u32 s17, s27, s3
	v_cmp_gt_i32_e64 s[2:3], s21, v2
	v_lshlrev_b64 v[2:3], 3, v[2:3]
	s_load_dword s6, s[4:5], 0x84
	s_cmp_gt_i32 s22, 0
	v_mov_b32_e32 v4, s17
	v_add_co_u32_e32 v8, vcc, s16, v2
	v_addc_co_u32_e32 v9, vcc, v4, v3, vcc
	v_lshlrev_b32_e32 v10, 8, v0
	v_lshlrev_b32_e32 v4, 3, v1
	s_cselect_b64 s[4:5], -1, 0
	v_add_u32_e32 v11, v10, v4
	v_or_b32_e32 v12, 0x2000, v4
	v_mov_b32_e32 v4, s15
	v_add_co_u32_e32 v14, vcc, s14, v2
	v_cndmask_b32_e64 v2, 0, 1, s[4:5]
	v_add_u32_e32 v13, v12, v10
	v_addc_co_u32_e32 v15, vcc, v4, v3, vcc
	v_cmp_ne_u32_e64 s[4:5], 1, v2
	v_add_u32_e32 v16, 0x800, v12
	v_add_u32_e32 v17, 0x1000, v12
	;; [unrolled: 1-line block ×3, first 2 shown]
	s_branch .LBB40_4
.LBB40_3:                               ;   in Loop: Header=BB40_4 Depth=1
	s_waitcnt lgkmcnt(0)
	s_add_i32 s7, s7, s6
	s_cmp_gt_i32 s7, s23
	s_cbranch_scc1 .LBB40_13
.LBB40_4:                               ; =>This Loop Header: Depth=1
                                        ;     Child Loop BB40_7 Depth 2
	s_and_b64 vcc, exec, s[4:5]
	s_cbranch_vccnz .LBB40_3
; %bb.5:                                ;   in Loop: Header=BB40_4 Depth=1
	v_lshl_add_u32 v19, s7, 5, v1
	v_ashrrev_i32_e32 v2, 31, v19
	v_mul_lo_u32 v4, s12, v2
	v_mul_lo_u32 v5, s13, v19
	v_mad_u64_u32 v[2:3], s[14:15], s12, v19, 0
	v_cmp_gt_i32_e32 vcc, s22, v19
	s_and_b64 s[14:15], s[2:3], vcc
	v_add3_u32 v3, v3, v4, v5
	v_lshlrev_b64 v[2:3], 3, v[2:3]
	s_mov_b32 s20, 0
	v_add_co_u32_e32 v2, vcc, v14, v2
	v_addc_co_u32_e32 v3, vcc, v15, v3, vcc
	s_branch .LBB40_7
.LBB40_6:                               ;   in Loop: Header=BB40_7 Depth=2
	s_or_b64 exec, exec, s[16:17]
	s_add_i32 s20, s20, 32
	s_cmp_ge_i32 s20, s22
	s_waitcnt vmcnt(0) lgkmcnt(0)
	s_barrier
	s_cbranch_scc1 .LBB40_3
.LBB40_7:                               ;   Parent Loop BB40_4 Depth=1
                                        ; =>  This Inner Loop Header: Depth=2
	v_add_u32_e32 v20, s20, v1
	v_cmp_gt_i32_e32 vcc, s22, v20
	v_mov_b32_e32 v4, 0
	v_mov_b32_e32 v6, 0
	;; [unrolled: 1-line block ×4, first 2 shown]
	s_and_b64 s[26:27], s[2:3], vcc
	s_and_saveexec_b64 s[16:17], s[26:27]
	s_cbranch_execz .LBB40_9
; %bb.8:                                ;   in Loop: Header=BB40_7 Depth=2
	v_ashrrev_i32_e32 v21, 31, v20
	v_mul_lo_u32 v22, s9, v20
	v_mad_u64_u32 v[6:7], s[26:27], s8, v20, 0
	v_mul_lo_u32 v20, s8, v21
	v_add3_u32 v7, v7, v20, v22
	v_lshlrev_b64 v[6:7], 3, v[6:7]
	v_add_co_u32_e32 v6, vcc, v8, v6
	v_addc_co_u32_e32 v7, vcc, v9, v7, vcc
	flat_load_dwordx2 v[6:7], v[6:7]
.LBB40_9:                               ;   in Loop: Header=BB40_7 Depth=2
	s_or_b64 exec, exec, s[16:17]
	s_waitcnt vmcnt(0) lgkmcnt(0)
	ds_write_b64 v11, v[6:7]
	v_add_u32_e32 v7, s20, v0
	v_cndmask_b32_e64 v6, v19, v7, s[0:1]
	v_cndmask_b32_e64 v20, v7, v19, s[0:1]
	v_cmp_gt_i32_e32 vcc, v6, v20
	v_cndmask_b32_e32 v6, v7, v19, vcc
	v_cndmask_b32_e32 v7, v19, v7, vcc
	v_max_i32_e32 v20, v6, v7
	v_cmp_gt_i32_e32 vcc, s22, v20
	s_and_saveexec_b64 s[16:17], vcc
	s_cbranch_execz .LBB40_11
; %bb.10:                               ;   in Loop: Header=BB40_7 Depth=2
	v_ashrrev_i32_e32 v20, 31, v7
	v_mul_lo_u32 v21, s19, v7
	v_mad_u64_u32 v[4:5], s[26:27], s18, v7, 0
	v_mul_lo_u32 v7, s18, v20
	v_mov_b32_e32 v20, s25
	v_add3_u32 v5, v5, v7, v21
	v_lshlrev_b64 v[4:5], 3, v[4:5]
	v_ashrrev_i32_e32 v7, 31, v6
	v_add_co_u32_e32 v21, vcc, s24, v4
	v_addc_co_u32_e32 v20, vcc, v20, v5, vcc
	v_lshlrev_b64 v[4:5], 3, v[6:7]
	v_add_co_u32_e32 v4, vcc, v21, v4
	v_addc_co_u32_e32 v5, vcc, v20, v5, vcc
	flat_load_dwordx2 v[4:5], v[4:5]
.LBB40_11:                              ;   in Loop: Header=BB40_7 Depth=2
	s_or_b64 exec, exec, s[16:17]
	s_waitcnt vmcnt(0) lgkmcnt(0)
	ds_write_b64 v13, v[4:5]
	s_waitcnt lgkmcnt(0)
	s_barrier
	s_and_saveexec_b64 s[16:17], s[14:15]
	s_cbranch_execz .LBB40_6
; %bb.12:                               ;   in Loop: Header=BB40_7 Depth=2
	ds_read2_b64 v[4:7], v12 offset1:32
	ds_read_b128 v[20:23], v10
	s_waitcnt lgkmcnt(0)
	v_fma_f64 v[4:5], v[20:21], v[4:5], 0
	v_fma_f64 v[24:25], v[22:23], v[6:7], v[4:5]
	ds_read_b128 v[4:7], v10 offset:16
	ds_read2_b64 v[20:23], v12 offset0:64 offset1:96
	s_waitcnt lgkmcnt(0)
	v_fma_f64 v[4:5], v[4:5], v[20:21], v[24:25]
	v_fma_f64 v[24:25], v[6:7], v[22:23], v[4:5]
	ds_read2_b64 v[4:7], v12 offset0:128 offset1:160
	ds_read_b128 v[20:23], v10 offset:32
	s_waitcnt lgkmcnt(0)
	v_fma_f64 v[4:5], v[20:21], v[4:5], v[24:25]
	v_fma_f64 v[24:25], v[22:23], v[6:7], v[4:5]
	ds_read_b128 v[4:7], v10 offset:48
	ds_read2_b64 v[20:23], v12 offset0:192 offset1:224
	s_waitcnt lgkmcnt(0)
	v_fma_f64 v[4:5], v[4:5], v[20:21], v[24:25]
	v_fma_f64 v[24:25], v[6:7], v[22:23], v[4:5]
	ds_read2_b64 v[4:7], v16 offset1:32
	ds_read_b128 v[20:23], v10 offset:64
	s_waitcnt lgkmcnt(0)
	v_fma_f64 v[4:5], v[20:21], v[4:5], v[24:25]
	v_fma_f64 v[24:25], v[22:23], v[6:7], v[4:5]
	ds_read_b128 v[4:7], v10 offset:80
	ds_read2_b64 v[20:23], v16 offset0:64 offset1:96
	s_waitcnt lgkmcnt(0)
	v_fma_f64 v[4:5], v[4:5], v[20:21], v[24:25]
	v_fma_f64 v[24:25], v[6:7], v[22:23], v[4:5]
	ds_read2_b64 v[4:7], v16 offset0:128 offset1:160
	ds_read_b128 v[20:23], v10 offset:96
	s_waitcnt lgkmcnt(0)
	v_fma_f64 v[4:5], v[20:21], v[4:5], v[24:25]
	v_fma_f64 v[24:25], v[22:23], v[6:7], v[4:5]
	ds_read_b128 v[4:7], v10 offset:112
	ds_read2_b64 v[20:23], v16 offset0:192 offset1:224
	s_waitcnt lgkmcnt(0)
	v_fma_f64 v[4:5], v[4:5], v[20:21], v[24:25]
	v_fma_f64 v[24:25], v[6:7], v[22:23], v[4:5]
	ds_read2_b64 v[4:7], v17 offset1:32
	ds_read_b128 v[20:23], v10 offset:128
	s_waitcnt lgkmcnt(0)
	v_fma_f64 v[4:5], v[20:21], v[4:5], v[24:25]
	v_fma_f64 v[24:25], v[22:23], v[6:7], v[4:5]
	ds_read_b128 v[4:7], v10 offset:144
	ds_read2_b64 v[20:23], v17 offset0:64 offset1:96
	s_waitcnt lgkmcnt(0)
	v_fma_f64 v[4:5], v[4:5], v[20:21], v[24:25]
	v_fma_f64 v[24:25], v[6:7], v[22:23], v[4:5]
	ds_read2_b64 v[4:7], v17 offset0:128 offset1:160
	ds_read_b128 v[20:23], v10 offset:160
	s_waitcnt lgkmcnt(0)
	v_fma_f64 v[4:5], v[20:21], v[4:5], v[24:25]
	v_fma_f64 v[24:25], v[22:23], v[6:7], v[4:5]
	ds_read_b128 v[4:7], v10 offset:176
	ds_read2_b64 v[20:23], v17 offset0:192 offset1:224
	s_waitcnt lgkmcnt(0)
	v_fma_f64 v[4:5], v[4:5], v[20:21], v[24:25]
	flat_load_dwordx2 v[24:25], v[2:3]
	v_fma_f64 v[26:27], v[6:7], v[22:23], v[4:5]
	ds_read2_b64 v[4:7], v18 offset1:32
	ds_read_b128 v[20:23], v10 offset:192
	s_waitcnt lgkmcnt(0)
	v_fma_f64 v[4:5], v[20:21], v[4:5], v[26:27]
	v_fma_f64 v[26:27], v[22:23], v[6:7], v[4:5]
	ds_read_b128 v[4:7], v10 offset:208
	ds_read2_b64 v[20:23], v18 offset0:64 offset1:96
	s_waitcnt lgkmcnt(0)
	v_fma_f64 v[4:5], v[4:5], v[20:21], v[26:27]
	v_fma_f64 v[26:27], v[6:7], v[22:23], v[4:5]
	ds_read2_b64 v[4:7], v18 offset0:128 offset1:160
	ds_read_b128 v[20:23], v10 offset:224
	s_waitcnt lgkmcnt(0)
	v_fma_f64 v[4:5], v[20:21], v[4:5], v[26:27]
	v_fma_f64 v[26:27], v[22:23], v[6:7], v[4:5]
	ds_read_b128 v[4:7], v10 offset:240
	ds_read2_b64 v[20:23], v18 offset0:192 offset1:224
	s_waitcnt lgkmcnt(0)
	v_fma_f64 v[4:5], v[4:5], v[20:21], v[26:27]
	v_fma_f64 v[4:5], v[6:7], v[22:23], v[4:5]
	s_waitcnt vmcnt(0)
	v_fma_f64 v[4:5], s[10:11], v[4:5], v[24:25]
	flat_store_dwordx2 v[2:3], v[4:5]
	s_branch .LBB40_6
.LBB40_13:
	s_endpgm
	.section	.rodata,"a",@progbits
	.p2align	6, 0x0
	.amdhsa_kernel _ZL24rocblas_symm_hemm_kernelILb0ELb1ELi32EPKdPKS1_PKPdEvbiiT2_T3_lllS8_lllT4_llli
		.amdhsa_group_segment_fixed_size 16384
		.amdhsa_private_segment_fixed_size 0
		.amdhsa_kernarg_size 384
		.amdhsa_user_sgpr_count 6
		.amdhsa_user_sgpr_private_segment_buffer 1
		.amdhsa_user_sgpr_dispatch_ptr 0
		.amdhsa_user_sgpr_queue_ptr 0
		.amdhsa_user_sgpr_kernarg_segment_ptr 1
		.amdhsa_user_sgpr_dispatch_id 0
		.amdhsa_user_sgpr_flat_scratch_init 0
		.amdhsa_user_sgpr_private_segment_size 0
		.amdhsa_uses_dynamic_stack 0
		.amdhsa_system_sgpr_private_segment_wavefront_offset 0
		.amdhsa_system_sgpr_workgroup_id_x 1
		.amdhsa_system_sgpr_workgroup_id_y 1
		.amdhsa_system_sgpr_workgroup_id_z 1
		.amdhsa_system_sgpr_workgroup_info 0
		.amdhsa_system_vgpr_workitem_id 1
		.amdhsa_next_free_vgpr 29
		.amdhsa_next_free_sgpr 61
		.amdhsa_reserve_vcc 1
		.amdhsa_reserve_flat_scratch 0
		.amdhsa_float_round_mode_32 0
		.amdhsa_float_round_mode_16_64 0
		.amdhsa_float_denorm_mode_32 3
		.amdhsa_float_denorm_mode_16_64 3
		.amdhsa_dx10_clamp 1
		.amdhsa_ieee_mode 1
		.amdhsa_fp16_overflow 0
		.amdhsa_exception_fp_ieee_invalid_op 0
		.amdhsa_exception_fp_denorm_src 0
		.amdhsa_exception_fp_ieee_div_zero 0
		.amdhsa_exception_fp_ieee_overflow 0
		.amdhsa_exception_fp_ieee_underflow 0
		.amdhsa_exception_fp_ieee_inexact 0
		.amdhsa_exception_int_div_zero 0
	.end_amdhsa_kernel
	.section	.text._ZL24rocblas_symm_hemm_kernelILb0ELb1ELi32EPKdPKS1_PKPdEvbiiT2_T3_lllS8_lllT4_llli,"axG",@progbits,_ZL24rocblas_symm_hemm_kernelILb0ELb1ELi32EPKdPKS1_PKPdEvbiiT2_T3_lllS8_lllT4_llli,comdat
.Lfunc_end40:
	.size	_ZL24rocblas_symm_hemm_kernelILb0ELb1ELi32EPKdPKS1_PKPdEvbiiT2_T3_lllS8_lllT4_llli, .Lfunc_end40-_ZL24rocblas_symm_hemm_kernelILb0ELb1ELi32EPKdPKS1_PKPdEvbiiT2_T3_lllS8_lllT4_llli
                                        ; -- End function
	.set _ZL24rocblas_symm_hemm_kernelILb0ELb1ELi32EPKdPKS1_PKPdEvbiiT2_T3_lllS8_lllT4_llli.num_vgpr, 28
	.set _ZL24rocblas_symm_hemm_kernelILb0ELb1ELi32EPKdPKS1_PKPdEvbiiT2_T3_lllS8_lllT4_llli.num_agpr, 0
	.set _ZL24rocblas_symm_hemm_kernelILb0ELb1ELi32EPKdPKS1_PKPdEvbiiT2_T3_lllS8_lllT4_llli.numbered_sgpr, 32
	.set _ZL24rocblas_symm_hemm_kernelILb0ELb1ELi32EPKdPKS1_PKPdEvbiiT2_T3_lllS8_lllT4_llli.num_named_barrier, 0
	.set _ZL24rocblas_symm_hemm_kernelILb0ELb1ELi32EPKdPKS1_PKPdEvbiiT2_T3_lllS8_lllT4_llli.private_seg_size, 0
	.set _ZL24rocblas_symm_hemm_kernelILb0ELb1ELi32EPKdPKS1_PKPdEvbiiT2_T3_lllS8_lllT4_llli.uses_vcc, 1
	.set _ZL24rocblas_symm_hemm_kernelILb0ELb1ELi32EPKdPKS1_PKPdEvbiiT2_T3_lllS8_lllT4_llli.uses_flat_scratch, 0
	.set _ZL24rocblas_symm_hemm_kernelILb0ELb1ELi32EPKdPKS1_PKPdEvbiiT2_T3_lllS8_lllT4_llli.has_dyn_sized_stack, 0
	.set _ZL24rocblas_symm_hemm_kernelILb0ELb1ELi32EPKdPKS1_PKPdEvbiiT2_T3_lllS8_lllT4_llli.has_recursion, 0
	.set _ZL24rocblas_symm_hemm_kernelILb0ELb1ELi32EPKdPKS1_PKPdEvbiiT2_T3_lllS8_lllT4_llli.has_indirect_call, 0
	.section	.AMDGPU.csdata,"",@progbits
; Kernel info:
; codeLenInByte = 1368
; TotalNumSgprs: 36
; NumVgprs: 28
; ScratchSize: 0
; MemoryBound: 0
; FloatMode: 240
; IeeeMode: 1
; LDSByteSize: 16384 bytes/workgroup (compile time only)
; SGPRBlocks: 8
; VGPRBlocks: 7
; NumSGPRsForWavesPerEU: 65
; NumVGPRsForWavesPerEU: 29
; Occupancy: 8
; WaveLimiterHint : 1
; COMPUTE_PGM_RSRC2:SCRATCH_EN: 0
; COMPUTE_PGM_RSRC2:USER_SGPR: 6
; COMPUTE_PGM_RSRC2:TRAP_HANDLER: 0
; COMPUTE_PGM_RSRC2:TGID_X_EN: 1
; COMPUTE_PGM_RSRC2:TGID_Y_EN: 1
; COMPUTE_PGM_RSRC2:TGID_Z_EN: 1
; COMPUTE_PGM_RSRC2:TIDIG_COMP_CNT: 1
	.section	.text._ZL25rocblas_symm_scale_kernelILi128ELi8EdPKPdEviiT1_T2_llli,"axG",@progbits,_ZL25rocblas_symm_scale_kernelILi128ELi8EdPKPdEviiT1_T2_llli,comdat
	.globl	_ZL25rocblas_symm_scale_kernelILi128ELi8EdPKPdEviiT1_T2_llli ; -- Begin function _ZL25rocblas_symm_scale_kernelILi128ELi8EdPKPdEviiT1_T2_llli
	.p2align	8
	.type	_ZL25rocblas_symm_scale_kernelILi128ELi8EdPKPdEviiT1_T2_llli,@function
_ZL25rocblas_symm_scale_kernelILi128ELi8EdPKPdEviiT1_T2_llli: ; @_ZL25rocblas_symm_scale_kernelILi128ELi8EdPKPdEviiT1_T2_llli
; %bb.0:
	s_load_dwordx8 s[12:19], s[4:5], 0x8
	s_waitcnt lgkmcnt(0)
	v_cmp_eq_f64_e64 s[0:1], s[12:13], 1.0
	s_and_b64 vcc, exec, s[0:1]
	s_cbranch_vccnz .LBB41_7
; %bb.1:
	s_load_dwordx2 s[0:1], s[4:5], 0x0
	v_lshl_add_u32 v2, s6, 7, v0
	v_lshl_add_u32 v0, s7, 3, v1
	v_mov_b32_e32 v1, 0
	s_waitcnt lgkmcnt(0)
	s_ashr_i32 s3, s1, 31
	s_mov_b32 s2, s1
	v_cmp_gt_i64_e32 vcc, s[2:3], v[0:1]
	v_cmp_gt_u32_e64 s[0:1], s0, v2
	s_and_b64 s[0:1], s[0:1], vcc
	s_and_saveexec_b64 s[6:7], s[0:1]
	s_cbranch_execz .LBB41_7
; %bb.2:
	v_mad_u64_u32 v[4:5], s[6:7], s18, v0, 0
	s_mov_b32 s9, 0
	s_lshl_b64 s[0:1], s[8:9], 3
	s_add_u32 s0, s14, s0
	s_addc_u32 s1, s15, s1
	v_mov_b32_e32 v3, v5
	s_load_dwordx2 s[6:7], s[0:1], 0x0
	s_load_dword s8, s[4:5], 0x3c
	v_mad_u64_u32 v[5:6], s[0:1], s19, v0, v[3:4]
	v_mov_b32_e32 v3, v1
	s_lshl_b64 s[0:1], s[16:17], 3
	v_lshlrev_b64 v[4:5], 3, v[4:5]
	v_mov_b32_e32 v6, s1
	v_add_co_u32_e32 v4, vcc, s0, v4
	v_lshlrev_b64 v[2:3], 3, v[2:3]
	s_waitcnt lgkmcnt(0)
	s_lshl_b32 s8, s8, 3
	v_addc_co_u32_e32 v5, vcc, v5, v6, vcc
	v_add_co_u32_e32 v2, vcc, v4, v2
	s_mul_i32 s0, s19, s8
	s_mul_hi_u32 s1, s18, s8
	v_addc_co_u32_e32 v3, vcc, v5, v3, vcc
	s_add_i32 s1, s1, s0
	s_mul_i32 s0, s18, s8
	v_mov_b32_e32 v4, s7
	v_add_co_u32_e32 v2, vcc, s6, v2
	s_lshl_b64 s[6:7], s[0:1], 3
	v_cmp_neq_f64_e64 s[0:1], s[12:13], 0
	v_addc_co_u32_e32 v3, vcc, v4, v3, vcc
	s_mov_b64 s[4:5], 0
	v_mov_b32_e32 v6, s7
	v_cndmask_b32_e64 v4, 0, 1, s[0:1]
	v_cmp_ne_u32_e64 s[0:1], 1, v4
	s_branch .LBB41_5
.LBB41_3:                               ;   in Loop: Header=BB41_5 Depth=1
	flat_load_dwordx2 v[4:5], v[2:3]
	s_waitcnt vmcnt(0) lgkmcnt(0)
	v_mul_f64 v[4:5], s[12:13], v[4:5]
.LBB41_4:                               ;   in Loop: Header=BB41_5 Depth=1
	v_add_co_u32_e32 v0, vcc, s8, v0
	v_addc_co_u32_e32 v1, vcc, 0, v1, vcc
	v_cmp_le_i64_e32 vcc, s[2:3], v[0:1]
	flat_store_dwordx2 v[2:3], v[4:5]
	s_or_b64 s[4:5], vcc, s[4:5]
	v_add_co_u32_e32 v2, vcc, s6, v2
	v_addc_co_u32_e32 v3, vcc, v3, v6, vcc
	s_andn2_b64 exec, exec, s[4:5]
	s_cbranch_execz .LBB41_7
.LBB41_5:                               ; =>This Inner Loop Header: Depth=1
	s_and_b64 vcc, exec, s[0:1]
	s_cbranch_vccz .LBB41_3
; %bb.6:                                ;   in Loop: Header=BB41_5 Depth=1
	v_mov_b32_e32 v4, 0
	v_mov_b32_e32 v5, 0
	s_branch .LBB41_4
.LBB41_7:
	s_endpgm
	.section	.rodata,"a",@progbits
	.p2align	6, 0x0
	.amdhsa_kernel _ZL25rocblas_symm_scale_kernelILi128ELi8EdPKPdEviiT1_T2_llli
		.amdhsa_group_segment_fixed_size 0
		.amdhsa_private_segment_fixed_size 0
		.amdhsa_kernarg_size 312
		.amdhsa_user_sgpr_count 6
		.amdhsa_user_sgpr_private_segment_buffer 1
		.amdhsa_user_sgpr_dispatch_ptr 0
		.amdhsa_user_sgpr_queue_ptr 0
		.amdhsa_user_sgpr_kernarg_segment_ptr 1
		.amdhsa_user_sgpr_dispatch_id 0
		.amdhsa_user_sgpr_flat_scratch_init 0
		.amdhsa_user_sgpr_private_segment_size 0
		.amdhsa_uses_dynamic_stack 0
		.amdhsa_system_sgpr_private_segment_wavefront_offset 0
		.amdhsa_system_sgpr_workgroup_id_x 1
		.amdhsa_system_sgpr_workgroup_id_y 1
		.amdhsa_system_sgpr_workgroup_id_z 1
		.amdhsa_system_sgpr_workgroup_info 0
		.amdhsa_system_vgpr_workitem_id 1
		.amdhsa_next_free_vgpr 7
		.amdhsa_next_free_sgpr 20
		.amdhsa_reserve_vcc 1
		.amdhsa_reserve_flat_scratch 0
		.amdhsa_float_round_mode_32 0
		.amdhsa_float_round_mode_16_64 0
		.amdhsa_float_denorm_mode_32 3
		.amdhsa_float_denorm_mode_16_64 3
		.amdhsa_dx10_clamp 1
		.amdhsa_ieee_mode 1
		.amdhsa_fp16_overflow 0
		.amdhsa_exception_fp_ieee_invalid_op 0
		.amdhsa_exception_fp_denorm_src 0
		.amdhsa_exception_fp_ieee_div_zero 0
		.amdhsa_exception_fp_ieee_overflow 0
		.amdhsa_exception_fp_ieee_underflow 0
		.amdhsa_exception_fp_ieee_inexact 0
		.amdhsa_exception_int_div_zero 0
	.end_amdhsa_kernel
	.section	.text._ZL25rocblas_symm_scale_kernelILi128ELi8EdPKPdEviiT1_T2_llli,"axG",@progbits,_ZL25rocblas_symm_scale_kernelILi128ELi8EdPKPdEviiT1_T2_llli,comdat
.Lfunc_end41:
	.size	_ZL25rocblas_symm_scale_kernelILi128ELi8EdPKPdEviiT1_T2_llli, .Lfunc_end41-_ZL25rocblas_symm_scale_kernelILi128ELi8EdPKPdEviiT1_T2_llli
                                        ; -- End function
	.set _ZL25rocblas_symm_scale_kernelILi128ELi8EdPKPdEviiT1_T2_llli.num_vgpr, 7
	.set _ZL25rocblas_symm_scale_kernelILi128ELi8EdPKPdEviiT1_T2_llli.num_agpr, 0
	.set _ZL25rocblas_symm_scale_kernelILi128ELi8EdPKPdEviiT1_T2_llli.numbered_sgpr, 20
	.set _ZL25rocblas_symm_scale_kernelILi128ELi8EdPKPdEviiT1_T2_llli.num_named_barrier, 0
	.set _ZL25rocblas_symm_scale_kernelILi128ELi8EdPKPdEviiT1_T2_llli.private_seg_size, 0
	.set _ZL25rocblas_symm_scale_kernelILi128ELi8EdPKPdEviiT1_T2_llli.uses_vcc, 1
	.set _ZL25rocblas_symm_scale_kernelILi128ELi8EdPKPdEviiT1_T2_llli.uses_flat_scratch, 0
	.set _ZL25rocblas_symm_scale_kernelILi128ELi8EdPKPdEviiT1_T2_llli.has_dyn_sized_stack, 0
	.set _ZL25rocblas_symm_scale_kernelILi128ELi8EdPKPdEviiT1_T2_llli.has_recursion, 0
	.set _ZL25rocblas_symm_scale_kernelILi128ELi8EdPKPdEviiT1_T2_llli.has_indirect_call, 0
	.section	.AMDGPU.csdata,"",@progbits
; Kernel info:
; codeLenInByte = 348
; TotalNumSgprs: 24
; NumVgprs: 7
; ScratchSize: 0
; MemoryBound: 1
; FloatMode: 240
; IeeeMode: 1
; LDSByteSize: 0 bytes/workgroup (compile time only)
; SGPRBlocks: 2
; VGPRBlocks: 1
; NumSGPRsForWavesPerEU: 24
; NumVGPRsForWavesPerEU: 7
; Occupancy: 10
; WaveLimiterHint : 0
; COMPUTE_PGM_RSRC2:SCRATCH_EN: 0
; COMPUTE_PGM_RSRC2:USER_SGPR: 6
; COMPUTE_PGM_RSRC2:TRAP_HANDLER: 0
; COMPUTE_PGM_RSRC2:TGID_X_EN: 1
; COMPUTE_PGM_RSRC2:TGID_Y_EN: 1
; COMPUTE_PGM_RSRC2:TGID_Z_EN: 1
; COMPUTE_PGM_RSRC2:TIDIG_COMP_CNT: 1
	.section	.text._ZL24rocblas_symm_hemm_kernelILb0ELb0ELi32EdPKPKdPKPdEvbiiT2_T3_lllS8_lllT4_llli,"axG",@progbits,_ZL24rocblas_symm_hemm_kernelILb0ELb0ELi32EdPKPKdPKPdEvbiiT2_T3_lllS8_lllT4_llli,comdat
	.globl	_ZL24rocblas_symm_hemm_kernelILb0ELb0ELi32EdPKPKdPKPdEvbiiT2_T3_lllS8_lllT4_llli ; -- Begin function _ZL24rocblas_symm_hemm_kernelILb0ELb0ELi32EdPKPKdPKPdEvbiiT2_T3_lllS8_lllT4_llli
	.p2align	8
	.type	_ZL24rocblas_symm_hemm_kernelILb0ELb0ELi32EdPKPKdPKPdEvbiiT2_T3_lllS8_lllT4_llli,@function
_ZL24rocblas_symm_hemm_kernelILb0ELb0ELi32EdPKPKdPKPdEvbiiT2_T3_lllS8_lllT4_llli: ; @_ZL24rocblas_symm_hemm_kernelILb0ELb0ELi32EdPKPKdPKPdEvbiiT2_T3_lllS8_lllT4_llli
; %bb.0:
	s_load_dwordx8 s[12:19], s[4:5], 0x10
	s_waitcnt lgkmcnt(0)
	v_cmp_eq_f64_e64 s[0:1], s[12:13], 0
	s_and_b64 vcc, exec, s[0:1]
	s_cbranch_vccnz .LBB42_13
; %bb.1:
	s_load_dwordx4 s[20:23], s[4:5], 0x0
	s_waitcnt lgkmcnt(0)
	s_add_i32 s0, s22, -1
	s_ashr_i32 s1, s0, 31
	s_lshr_b32 s1, s1, 27
	s_add_i32 s0, s0, s1
	s_ashr_i32 s23, s0, 5
	s_cmp_gt_i32 s7, s23
	s_cbranch_scc1 .LBB42_13
; %bb.2:
	s_mov_b32 s9, 0
	s_lshl_b64 s[8:9], s[8:9], 3
	s_add_u32 s14, s14, s8
	s_addc_u32 s15, s15, s9
	s_load_dwordx2 s[24:25], s[14:15], 0x0
	s_load_dwordx4 s[0:3], s[4:5], 0x38
	s_load_dwordx2 s[10:11], s[4:5], 0x48
	s_lshl_b64 s[14:15], s[16:17], 3
	v_lshl_add_u32 v2, s6, 5, v0
	s_waitcnt lgkmcnt(0)
	s_add_u32 s26, s24, s14
	s_addc_u32 s27, s25, s15
	s_add_u32 s0, s0, s8
	s_addc_u32 s1, s1, s9
	s_load_dwordx2 s[16:17], s[0:1], 0x0
	s_load_dwordx4 s[36:39], s[4:5], 0x58
	s_load_dwordx2 s[14:15], s[4:5], 0x68
	s_lshl_b64 s[0:1], s[2:3], 3
	v_lshlrev_b32_e32 v10, 8, v0
	s_waitcnt lgkmcnt(0)
	s_add_u32 s6, s16, s0
	s_addc_u32 s28, s17, s1
	s_add_u32 s0, s36, s8
	s_addc_u32 s1, s37, s9
	s_load_dwordx2 s[2:3], s[0:1], 0x0
	s_bitcmp1_b32 s20, 0
	s_cselect_b64 s[0:1], -1, 0
	s_lshl_b64 s[8:9], s[38:39], 3
	v_lshlrev_b32_e32 v3, 3, v1
	s_waitcnt lgkmcnt(0)
	s_add_u32 s8, s2, s8
	s_addc_u32 s9, s3, s9
	v_add_u32_e32 v11, v10, v3
	v_or_b32_e32 v12, 0x2000, v3
	v_ashrrev_i32_e32 v3, 31, v2
	s_load_dword s20, s[4:5], 0x84
	s_cmp_gt_i32 s21, 0
	v_lshlrev_b64 v[3:4], 3, v[2:3]
	s_cselect_b64 s[4:5], -1, 0
	v_mov_b32_e32 v5, s9
	v_add_co_u32_e32 v14, vcc, s8, v3
	v_cndmask_b32_e64 v3, 0, 1, s[4:5]
	v_add_u32_e32 v13, v12, v10
	v_cmp_gt_i32_e64 s[2:3], s21, v2
	v_addc_co_u32_e32 v15, vcc, v5, v4, vcc
	v_cmp_ne_u32_e64 s[4:5], 1, v3
	v_add_u32_e32 v16, 0x800, v12
	v_add_u32_e32 v17, 0x1000, v12
	;; [unrolled: 1-line block ×3, first 2 shown]
	s_branch .LBB42_4
.LBB42_3:                               ;   in Loop: Header=BB42_4 Depth=1
	s_waitcnt lgkmcnt(0)
	s_add_i32 s7, s7, s20
	s_cmp_gt_i32 s7, s23
	s_cbranch_scc1 .LBB42_13
.LBB42_4:                               ; =>This Loop Header: Depth=1
                                        ;     Child Loop BB42_7 Depth 2
	s_and_b64 vcc, exec, s[4:5]
	s_cbranch_vccnz .LBB42_3
; %bb.5:                                ;   in Loop: Header=BB42_4 Depth=1
	v_lshl_add_u32 v5, s7, 5, v1
	v_ashrrev_i32_e32 v6, 31, v5
	v_mul_lo_u32 v7, s10, v6
	v_mul_lo_u32 v8, s11, v5
	v_mad_u64_u32 v[3:4], s[8:9], s10, v5, 0
	v_cmp_gt_i32_e32 vcc, s22, v5
	v_mul_lo_u32 v9, s15, v5
	v_add3_u32 v4, v4, v7, v8
	v_mul_lo_u32 v8, s14, v6
	v_mad_u64_u32 v[5:6], s[8:9], s14, v5, 0
	v_lshlrev_b64 v[3:4], 3, v[3:4]
	v_mov_b32_e32 v7, s28
	v_add_co_u32_e64 v19, s[8:9], s6, v3
	v_add3_u32 v6, v6, v8, v9
	v_addc_co_u32_e64 v20, s[8:9], v7, v4, s[8:9]
	v_lshlrev_b64 v[3:4], 3, v[5:6]
	s_and_b64 s[16:17], s[2:3], vcc
	v_add_co_u32_e64 v3, s[8:9], v14, v3
	v_addc_co_u32_e64 v4, s[8:9], v15, v4, s[8:9]
	s_mov_b32 s29, 0
	s_branch .LBB42_7
.LBB42_6:                               ;   in Loop: Header=BB42_7 Depth=2
	s_or_b64 exec, exec, s[8:9]
	s_add_i32 s29, s29, 32
	s_cmp_ge_i32 s29, s21
	s_waitcnt vmcnt(0) lgkmcnt(0)
	s_barrier
	s_cbranch_scc1 .LBB42_3
.LBB42_7:                               ;   Parent Loop BB42_4 Depth=1
                                        ; =>  This Inner Loop Header: Depth=2
	v_add_u32_e32 v5, s29, v1
	v_cndmask_b32_e64 v6, v5, v2, s[0:1]
	v_cndmask_b32_e64 v7, v2, v5, s[0:1]
	v_cmp_gt_i32_e64 s[8:9], v6, v7
	v_cndmask_b32_e64 v7, v2, v5, s[8:9]
	v_cndmask_b32_e64 v21, v5, v2, s[8:9]
	v_max_i32_e32 v22, v7, v21
	v_mov_b32_e32 v5, 0
	v_mov_b32_e32 v8, 0
	;; [unrolled: 1-line block ×4, first 2 shown]
	v_cmp_gt_i32_e64 s[8:9], s21, v22
	s_and_saveexec_b64 s[24:25], s[8:9]
	s_cbranch_execz .LBB42_9
; %bb.8:                                ;   in Loop: Header=BB42_7 Depth=2
	v_ashrrev_i32_e32 v8, 31, v21
	v_mul_lo_u32 v9, s19, v21
	v_mad_u64_u32 v[21:22], s[8:9], s18, v21, 0
	v_mul_lo_u32 v8, s18, v8
	v_add3_u32 v22, v22, v8, v9
	v_lshlrev_b64 v[21:22], 3, v[21:22]
	v_ashrrev_i32_e32 v8, 31, v7
	v_mov_b32_e32 v9, s27
	v_add_co_u32_e64 v21, s[8:9], s26, v21
	v_lshlrev_b64 v[7:8], 3, v[7:8]
	v_addc_co_u32_e64 v9, s[8:9], v9, v22, s[8:9]
	v_add_co_u32_e64 v7, s[8:9], v21, v7
	v_addc_co_u32_e64 v8, s[8:9], v9, v8, s[8:9]
	flat_load_dwordx2 v[8:9], v[7:8]
.LBB42_9:                               ;   in Loop: Header=BB42_7 Depth=2
	s_or_b64 exec, exec, s[24:25]
	v_add_u32_e32 v7, s29, v0
	v_cmp_gt_i32_e64 s[8:9], s21, v7
	s_and_b64 s[8:9], s[8:9], vcc
	s_waitcnt vmcnt(0) lgkmcnt(0)
	ds_write_b64 v11, v[8:9]
	s_and_saveexec_b64 s[24:25], s[8:9]
	s_cbranch_execz .LBB42_11
; %bb.10:                               ;   in Loop: Header=BB42_7 Depth=2
	v_ashrrev_i32_e32 v8, 31, v7
	v_lshlrev_b64 v[5:6], 3, v[7:8]
	v_add_co_u32_e64 v5, s[8:9], v19, v5
	v_addc_co_u32_e64 v6, s[8:9], v20, v6, s[8:9]
	flat_load_dwordx2 v[5:6], v[5:6]
.LBB42_11:                              ;   in Loop: Header=BB42_7 Depth=2
	s_or_b64 exec, exec, s[24:25]
	s_waitcnt vmcnt(0) lgkmcnt(0)
	ds_write_b64 v13, v[5:6]
	s_waitcnt lgkmcnt(0)
	s_barrier
	s_and_saveexec_b64 s[8:9], s[16:17]
	s_cbranch_execz .LBB42_6
; %bb.12:                               ;   in Loop: Header=BB42_7 Depth=2
	ds_read2_b64 v[5:8], v12 offset1:32
	ds_read_b128 v[21:24], v10
	s_waitcnt lgkmcnt(0)
	v_fma_f64 v[5:6], v[21:22], v[5:6], 0
	v_fma_f64 v[25:26], v[23:24], v[7:8], v[5:6]
	ds_read_b128 v[5:8], v10 offset:16
	ds_read2_b64 v[21:24], v12 offset0:64 offset1:96
	s_waitcnt lgkmcnt(0)
	v_fma_f64 v[5:6], v[5:6], v[21:22], v[25:26]
	v_fma_f64 v[25:26], v[7:8], v[23:24], v[5:6]
	ds_read2_b64 v[5:8], v12 offset0:128 offset1:160
	ds_read_b128 v[21:24], v10 offset:32
	s_waitcnt lgkmcnt(0)
	v_fma_f64 v[5:6], v[21:22], v[5:6], v[25:26]
	v_fma_f64 v[25:26], v[23:24], v[7:8], v[5:6]
	ds_read_b128 v[5:8], v10 offset:48
	ds_read2_b64 v[21:24], v12 offset0:192 offset1:224
	s_waitcnt lgkmcnt(0)
	v_fma_f64 v[5:6], v[5:6], v[21:22], v[25:26]
	v_fma_f64 v[25:26], v[7:8], v[23:24], v[5:6]
	ds_read2_b64 v[5:8], v16 offset1:32
	ds_read_b128 v[21:24], v10 offset:64
	s_waitcnt lgkmcnt(0)
	v_fma_f64 v[5:6], v[21:22], v[5:6], v[25:26]
	v_fma_f64 v[25:26], v[23:24], v[7:8], v[5:6]
	ds_read_b128 v[5:8], v10 offset:80
	ds_read2_b64 v[21:24], v16 offset0:64 offset1:96
	s_waitcnt lgkmcnt(0)
	v_fma_f64 v[5:6], v[5:6], v[21:22], v[25:26]
	v_fma_f64 v[25:26], v[7:8], v[23:24], v[5:6]
	ds_read2_b64 v[5:8], v16 offset0:128 offset1:160
	ds_read_b128 v[21:24], v10 offset:96
	s_waitcnt lgkmcnt(0)
	v_fma_f64 v[5:6], v[21:22], v[5:6], v[25:26]
	v_fma_f64 v[25:26], v[23:24], v[7:8], v[5:6]
	ds_read_b128 v[5:8], v10 offset:112
	ds_read2_b64 v[21:24], v16 offset0:192 offset1:224
	s_waitcnt lgkmcnt(0)
	v_fma_f64 v[5:6], v[5:6], v[21:22], v[25:26]
	v_fma_f64 v[25:26], v[7:8], v[23:24], v[5:6]
	ds_read2_b64 v[5:8], v17 offset1:32
	ds_read_b128 v[21:24], v10 offset:128
	s_waitcnt lgkmcnt(0)
	v_fma_f64 v[5:6], v[21:22], v[5:6], v[25:26]
	v_fma_f64 v[25:26], v[23:24], v[7:8], v[5:6]
	ds_read_b128 v[5:8], v10 offset:144
	ds_read2_b64 v[21:24], v17 offset0:64 offset1:96
	s_waitcnt lgkmcnt(0)
	v_fma_f64 v[5:6], v[5:6], v[21:22], v[25:26]
	v_fma_f64 v[25:26], v[7:8], v[23:24], v[5:6]
	ds_read2_b64 v[5:8], v17 offset0:128 offset1:160
	ds_read_b128 v[21:24], v10 offset:160
	s_waitcnt lgkmcnt(0)
	v_fma_f64 v[5:6], v[21:22], v[5:6], v[25:26]
	v_fma_f64 v[25:26], v[23:24], v[7:8], v[5:6]
	ds_read_b128 v[5:8], v10 offset:176
	ds_read2_b64 v[21:24], v17 offset0:192 offset1:224
	s_waitcnt lgkmcnt(0)
	v_fma_f64 v[5:6], v[5:6], v[21:22], v[25:26]
	flat_load_dwordx2 v[25:26], v[3:4]
	v_fma_f64 v[27:28], v[7:8], v[23:24], v[5:6]
	ds_read2_b64 v[5:8], v18 offset1:32
	ds_read_b128 v[21:24], v10 offset:192
	s_waitcnt lgkmcnt(0)
	v_fma_f64 v[5:6], v[21:22], v[5:6], v[27:28]
	v_fma_f64 v[27:28], v[23:24], v[7:8], v[5:6]
	ds_read_b128 v[5:8], v10 offset:208
	ds_read2_b64 v[21:24], v18 offset0:64 offset1:96
	s_waitcnt lgkmcnt(0)
	v_fma_f64 v[5:6], v[5:6], v[21:22], v[27:28]
	v_fma_f64 v[27:28], v[7:8], v[23:24], v[5:6]
	ds_read2_b64 v[5:8], v18 offset0:128 offset1:160
	ds_read_b128 v[21:24], v10 offset:224
	s_waitcnt lgkmcnt(0)
	v_fma_f64 v[5:6], v[21:22], v[5:6], v[27:28]
	v_fma_f64 v[27:28], v[23:24], v[7:8], v[5:6]
	ds_read_b128 v[5:8], v10 offset:240
	ds_read2_b64 v[21:24], v18 offset0:192 offset1:224
	s_waitcnt lgkmcnt(0)
	v_fma_f64 v[5:6], v[5:6], v[21:22], v[27:28]
	v_fma_f64 v[5:6], v[7:8], v[23:24], v[5:6]
	s_waitcnt vmcnt(0)
	v_fma_f64 v[5:6], s[12:13], v[5:6], v[25:26]
	flat_store_dwordx2 v[3:4], v[5:6]
	s_branch .LBB42_6
.LBB42_13:
	s_endpgm
	.section	.rodata,"a",@progbits
	.p2align	6, 0x0
	.amdhsa_kernel _ZL24rocblas_symm_hemm_kernelILb0ELb0ELi32EdPKPKdPKPdEvbiiT2_T3_lllS8_lllT4_llli
		.amdhsa_group_segment_fixed_size 16384
		.amdhsa_private_segment_fixed_size 0
		.amdhsa_kernarg_size 384
		.amdhsa_user_sgpr_count 6
		.amdhsa_user_sgpr_private_segment_buffer 1
		.amdhsa_user_sgpr_dispatch_ptr 0
		.amdhsa_user_sgpr_queue_ptr 0
		.amdhsa_user_sgpr_kernarg_segment_ptr 1
		.amdhsa_user_sgpr_dispatch_id 0
		.amdhsa_user_sgpr_flat_scratch_init 0
		.amdhsa_user_sgpr_private_segment_size 0
		.amdhsa_uses_dynamic_stack 0
		.amdhsa_system_sgpr_private_segment_wavefront_offset 0
		.amdhsa_system_sgpr_workgroup_id_x 1
		.amdhsa_system_sgpr_workgroup_id_y 1
		.amdhsa_system_sgpr_workgroup_id_z 1
		.amdhsa_system_sgpr_workgroup_info 0
		.amdhsa_system_vgpr_workitem_id 1
		.amdhsa_next_free_vgpr 29
		.amdhsa_next_free_sgpr 61
		.amdhsa_reserve_vcc 1
		.amdhsa_reserve_flat_scratch 0
		.amdhsa_float_round_mode_32 0
		.amdhsa_float_round_mode_16_64 0
		.amdhsa_float_denorm_mode_32 3
		.amdhsa_float_denorm_mode_16_64 3
		.amdhsa_dx10_clamp 1
		.amdhsa_ieee_mode 1
		.amdhsa_fp16_overflow 0
		.amdhsa_exception_fp_ieee_invalid_op 0
		.amdhsa_exception_fp_denorm_src 0
		.amdhsa_exception_fp_ieee_div_zero 0
		.amdhsa_exception_fp_ieee_overflow 0
		.amdhsa_exception_fp_ieee_underflow 0
		.amdhsa_exception_fp_ieee_inexact 0
		.amdhsa_exception_int_div_zero 0
	.end_amdhsa_kernel
	.section	.text._ZL24rocblas_symm_hemm_kernelILb0ELb0ELi32EdPKPKdPKPdEvbiiT2_T3_lllS8_lllT4_llli,"axG",@progbits,_ZL24rocblas_symm_hemm_kernelILb0ELb0ELi32EdPKPKdPKPdEvbiiT2_T3_lllS8_lllT4_llli,comdat
.Lfunc_end42:
	.size	_ZL24rocblas_symm_hemm_kernelILb0ELb0ELi32EdPKPKdPKPdEvbiiT2_T3_lllS8_lllT4_llli, .Lfunc_end42-_ZL24rocblas_symm_hemm_kernelILb0ELb0ELi32EdPKPKdPKPdEvbiiT2_T3_lllS8_lllT4_llli
                                        ; -- End function
	.set _ZL24rocblas_symm_hemm_kernelILb0ELb0ELi32EdPKPKdPKPdEvbiiT2_T3_lllS8_lllT4_llli.num_vgpr, 29
	.set _ZL24rocblas_symm_hemm_kernelILb0ELb0ELi32EdPKPKdPKPdEvbiiT2_T3_lllS8_lllT4_llli.num_agpr, 0
	.set _ZL24rocblas_symm_hemm_kernelILb0ELb0ELi32EdPKPKdPKPdEvbiiT2_T3_lllS8_lllT4_llli.numbered_sgpr, 40
	.set _ZL24rocblas_symm_hemm_kernelILb0ELb0ELi32EdPKPKdPKPdEvbiiT2_T3_lllS8_lllT4_llli.num_named_barrier, 0
	.set _ZL24rocblas_symm_hemm_kernelILb0ELb0ELi32EdPKPKdPKPdEvbiiT2_T3_lllS8_lllT4_llli.private_seg_size, 0
	.set _ZL24rocblas_symm_hemm_kernelILb0ELb0ELi32EdPKPKdPKPdEvbiiT2_T3_lllS8_lllT4_llli.uses_vcc, 1
	.set _ZL24rocblas_symm_hemm_kernelILb0ELb0ELi32EdPKPKdPKPdEvbiiT2_T3_lllS8_lllT4_llli.uses_flat_scratch, 0
	.set _ZL24rocblas_symm_hemm_kernelILb0ELb0ELi32EdPKPKdPKPdEvbiiT2_T3_lllS8_lllT4_llli.has_dyn_sized_stack, 0
	.set _ZL24rocblas_symm_hemm_kernelILb0ELb0ELi32EdPKPKdPKPdEvbiiT2_T3_lllS8_lllT4_llli.has_recursion, 0
	.set _ZL24rocblas_symm_hemm_kernelILb0ELb0ELi32EdPKPKdPKPdEvbiiT2_T3_lllS8_lllT4_llli.has_indirect_call, 0
	.section	.AMDGPU.csdata,"",@progbits
; Kernel info:
; codeLenInByte = 1428
; TotalNumSgprs: 44
; NumVgprs: 29
; ScratchSize: 0
; MemoryBound: 0
; FloatMode: 240
; IeeeMode: 1
; LDSByteSize: 16384 bytes/workgroup (compile time only)
; SGPRBlocks: 8
; VGPRBlocks: 7
; NumSGPRsForWavesPerEU: 65
; NumVGPRsForWavesPerEU: 29
; Occupancy: 8
; WaveLimiterHint : 1
; COMPUTE_PGM_RSRC2:SCRATCH_EN: 0
; COMPUTE_PGM_RSRC2:USER_SGPR: 6
; COMPUTE_PGM_RSRC2:TRAP_HANDLER: 0
; COMPUTE_PGM_RSRC2:TGID_X_EN: 1
; COMPUTE_PGM_RSRC2:TGID_Y_EN: 1
; COMPUTE_PGM_RSRC2:TGID_Z_EN: 1
; COMPUTE_PGM_RSRC2:TIDIG_COMP_CNT: 1
	.section	.text._ZL24rocblas_symm_hemm_kernelILb0ELb1ELi32EdPKPKdPKPdEvbiiT2_T3_lllS8_lllT4_llli,"axG",@progbits,_ZL24rocblas_symm_hemm_kernelILb0ELb1ELi32EdPKPKdPKPdEvbiiT2_T3_lllS8_lllT4_llli,comdat
	.globl	_ZL24rocblas_symm_hemm_kernelILb0ELb1ELi32EdPKPKdPKPdEvbiiT2_T3_lllS8_lllT4_llli ; -- Begin function _ZL24rocblas_symm_hemm_kernelILb0ELb1ELi32EdPKPKdPKPdEvbiiT2_T3_lllS8_lllT4_llli
	.p2align	8
	.type	_ZL24rocblas_symm_hemm_kernelILb0ELb1ELi32EdPKPKdPKPdEvbiiT2_T3_lllS8_lllT4_llli,@function
_ZL24rocblas_symm_hemm_kernelILb0ELb1ELi32EdPKPKdPKPdEvbiiT2_T3_lllS8_lllT4_llli: ; @_ZL24rocblas_symm_hemm_kernelILb0ELb1ELi32EdPKPKdPKPdEvbiiT2_T3_lllS8_lllT4_llli
; %bb.0:
	s_load_dwordx8 s[12:19], s[4:5], 0x10
	s_waitcnt lgkmcnt(0)
	v_cmp_eq_f64_e64 s[0:1], s[12:13], 0
	s_and_b64 vcc, exec, s[0:1]
	s_cbranch_vccnz .LBB43_13
; %bb.1:
	s_load_dwordx4 s[20:23], s[4:5], 0x0
	s_waitcnt lgkmcnt(0)
	s_add_i32 s0, s22, -1
	s_ashr_i32 s1, s0, 31
	s_lshr_b32 s1, s1, 27
	s_add_i32 s0, s0, s1
	s_ashr_i32 s23, s0, 5
	s_cmp_gt_i32 s7, s23
	s_cbranch_scc1 .LBB43_13
; %bb.2:
	s_mov_b32 s9, 0
	s_lshl_b64 s[26:27], s[8:9], 3
	s_add_u32 s14, s14, s26
	s_addc_u32 s15, s15, s27
	s_load_dwordx2 s[24:25], s[14:15], 0x0
	s_load_dwordx4 s[0:3], s[4:5], 0x38
	s_load_dwordx2 s[8:9], s[4:5], 0x48
	s_load_dwordx4 s[28:31], s[4:5], 0x58
	s_load_dwordx2 s[10:11], s[4:5], 0x68
	s_lshl_b64 s[14:15], s[16:17], 3
	s_waitcnt lgkmcnt(0)
	s_add_u32 s24, s24, s14
	s_addc_u32 s25, s25, s15
	s_add_u32 s0, s0, s26
	s_addc_u32 s1, s1, s27
	;; [unrolled: 2-line block ×3, first 2 shown]
	s_load_dwordx2 s[16:17], s[14:15], 0x0
	s_load_dwordx2 s[26:27], s[0:1], 0x0
	s_bitcmp1_b32 s20, 0
	s_cselect_b64 s[0:1], -1, 0
	s_lshl_b64 s[14:15], s[30:31], 3
	s_waitcnt lgkmcnt(0)
	s_add_u32 s14, s16, s14
	s_addc_u32 s15, s17, s15
	s_lshl_b64 s[2:3], s[2:3], 3
	v_lshl_add_u32 v2, s6, 5, v0
	s_add_u32 s16, s26, s2
	v_ashrrev_i32_e32 v3, 31, v2
	s_addc_u32 s17, s27, s3
	v_cmp_gt_i32_e64 s[2:3], s21, v2
	v_lshlrev_b64 v[2:3], 3, v[2:3]
	s_load_dword s6, s[4:5], 0x84
	s_cmp_gt_i32 s22, 0
	v_mov_b32_e32 v4, s17
	v_add_co_u32_e32 v8, vcc, s16, v2
	v_addc_co_u32_e32 v9, vcc, v4, v3, vcc
	v_lshlrev_b32_e32 v10, 8, v0
	v_lshlrev_b32_e32 v4, 3, v1
	s_cselect_b64 s[4:5], -1, 0
	v_add_u32_e32 v11, v10, v4
	v_or_b32_e32 v12, 0x2000, v4
	v_mov_b32_e32 v4, s15
	v_add_co_u32_e32 v14, vcc, s14, v2
	v_cndmask_b32_e64 v2, 0, 1, s[4:5]
	v_add_u32_e32 v13, v12, v10
	v_addc_co_u32_e32 v15, vcc, v4, v3, vcc
	v_cmp_ne_u32_e64 s[4:5], 1, v2
	v_add_u32_e32 v16, 0x800, v12
	v_add_u32_e32 v17, 0x1000, v12
	;; [unrolled: 1-line block ×3, first 2 shown]
	s_branch .LBB43_4
.LBB43_3:                               ;   in Loop: Header=BB43_4 Depth=1
	s_waitcnt lgkmcnt(0)
	s_add_i32 s7, s7, s6
	s_cmp_gt_i32 s7, s23
	s_cbranch_scc1 .LBB43_13
.LBB43_4:                               ; =>This Loop Header: Depth=1
                                        ;     Child Loop BB43_7 Depth 2
	s_and_b64 vcc, exec, s[4:5]
	s_cbranch_vccnz .LBB43_3
; %bb.5:                                ;   in Loop: Header=BB43_4 Depth=1
	v_lshl_add_u32 v19, s7, 5, v1
	v_ashrrev_i32_e32 v2, 31, v19
	v_mul_lo_u32 v4, s10, v2
	v_mul_lo_u32 v5, s11, v19
	v_mad_u64_u32 v[2:3], s[14:15], s10, v19, 0
	v_cmp_gt_i32_e32 vcc, s22, v19
	s_and_b64 s[14:15], s[2:3], vcc
	v_add3_u32 v3, v3, v4, v5
	v_lshlrev_b64 v[2:3], 3, v[2:3]
	s_mov_b32 s20, 0
	v_add_co_u32_e32 v2, vcc, v14, v2
	v_addc_co_u32_e32 v3, vcc, v15, v3, vcc
	s_branch .LBB43_7
.LBB43_6:                               ;   in Loop: Header=BB43_7 Depth=2
	s_or_b64 exec, exec, s[16:17]
	s_add_i32 s20, s20, 32
	s_cmp_ge_i32 s20, s22
	s_waitcnt vmcnt(0) lgkmcnt(0)
	s_barrier
	s_cbranch_scc1 .LBB43_3
.LBB43_7:                               ;   Parent Loop BB43_4 Depth=1
                                        ; =>  This Inner Loop Header: Depth=2
	v_add_u32_e32 v20, s20, v1
	v_cmp_gt_i32_e32 vcc, s22, v20
	v_mov_b32_e32 v4, 0
	v_mov_b32_e32 v6, 0
	;; [unrolled: 1-line block ×4, first 2 shown]
	s_and_b64 s[26:27], s[2:3], vcc
	s_and_saveexec_b64 s[16:17], s[26:27]
	s_cbranch_execz .LBB43_9
; %bb.8:                                ;   in Loop: Header=BB43_7 Depth=2
	v_ashrrev_i32_e32 v21, 31, v20
	v_mul_lo_u32 v22, s9, v20
	v_mad_u64_u32 v[6:7], s[26:27], s8, v20, 0
	v_mul_lo_u32 v20, s8, v21
	v_add3_u32 v7, v7, v20, v22
	v_lshlrev_b64 v[6:7], 3, v[6:7]
	v_add_co_u32_e32 v6, vcc, v8, v6
	v_addc_co_u32_e32 v7, vcc, v9, v7, vcc
	flat_load_dwordx2 v[6:7], v[6:7]
.LBB43_9:                               ;   in Loop: Header=BB43_7 Depth=2
	s_or_b64 exec, exec, s[16:17]
	s_waitcnt vmcnt(0) lgkmcnt(0)
	ds_write_b64 v11, v[6:7]
	v_add_u32_e32 v7, s20, v0
	v_cndmask_b32_e64 v6, v19, v7, s[0:1]
	v_cndmask_b32_e64 v20, v7, v19, s[0:1]
	v_cmp_gt_i32_e32 vcc, v6, v20
	v_cndmask_b32_e32 v6, v7, v19, vcc
	v_cndmask_b32_e32 v7, v19, v7, vcc
	v_max_i32_e32 v20, v6, v7
	v_cmp_gt_i32_e32 vcc, s22, v20
	s_and_saveexec_b64 s[16:17], vcc
	s_cbranch_execz .LBB43_11
; %bb.10:                               ;   in Loop: Header=BB43_7 Depth=2
	v_ashrrev_i32_e32 v20, 31, v7
	v_mul_lo_u32 v21, s19, v7
	v_mad_u64_u32 v[4:5], s[26:27], s18, v7, 0
	v_mul_lo_u32 v7, s18, v20
	v_mov_b32_e32 v20, s25
	v_add3_u32 v5, v5, v7, v21
	v_lshlrev_b64 v[4:5], 3, v[4:5]
	v_ashrrev_i32_e32 v7, 31, v6
	v_add_co_u32_e32 v21, vcc, s24, v4
	v_addc_co_u32_e32 v20, vcc, v20, v5, vcc
	v_lshlrev_b64 v[4:5], 3, v[6:7]
	v_add_co_u32_e32 v4, vcc, v21, v4
	v_addc_co_u32_e32 v5, vcc, v20, v5, vcc
	flat_load_dwordx2 v[4:5], v[4:5]
.LBB43_11:                              ;   in Loop: Header=BB43_7 Depth=2
	s_or_b64 exec, exec, s[16:17]
	s_waitcnt vmcnt(0) lgkmcnt(0)
	ds_write_b64 v13, v[4:5]
	s_waitcnt lgkmcnt(0)
	s_barrier
	s_and_saveexec_b64 s[16:17], s[14:15]
	s_cbranch_execz .LBB43_6
; %bb.12:                               ;   in Loop: Header=BB43_7 Depth=2
	ds_read2_b64 v[4:7], v12 offset1:32
	ds_read_b128 v[20:23], v10
	s_waitcnt lgkmcnt(0)
	v_fma_f64 v[4:5], v[20:21], v[4:5], 0
	v_fma_f64 v[24:25], v[22:23], v[6:7], v[4:5]
	ds_read_b128 v[4:7], v10 offset:16
	ds_read2_b64 v[20:23], v12 offset0:64 offset1:96
	s_waitcnt lgkmcnt(0)
	v_fma_f64 v[4:5], v[4:5], v[20:21], v[24:25]
	v_fma_f64 v[24:25], v[6:7], v[22:23], v[4:5]
	ds_read2_b64 v[4:7], v12 offset0:128 offset1:160
	ds_read_b128 v[20:23], v10 offset:32
	s_waitcnt lgkmcnt(0)
	v_fma_f64 v[4:5], v[20:21], v[4:5], v[24:25]
	v_fma_f64 v[24:25], v[22:23], v[6:7], v[4:5]
	ds_read_b128 v[4:7], v10 offset:48
	ds_read2_b64 v[20:23], v12 offset0:192 offset1:224
	s_waitcnt lgkmcnt(0)
	v_fma_f64 v[4:5], v[4:5], v[20:21], v[24:25]
	v_fma_f64 v[24:25], v[6:7], v[22:23], v[4:5]
	ds_read2_b64 v[4:7], v16 offset1:32
	ds_read_b128 v[20:23], v10 offset:64
	s_waitcnt lgkmcnt(0)
	v_fma_f64 v[4:5], v[20:21], v[4:5], v[24:25]
	v_fma_f64 v[24:25], v[22:23], v[6:7], v[4:5]
	ds_read_b128 v[4:7], v10 offset:80
	ds_read2_b64 v[20:23], v16 offset0:64 offset1:96
	s_waitcnt lgkmcnt(0)
	v_fma_f64 v[4:5], v[4:5], v[20:21], v[24:25]
	v_fma_f64 v[24:25], v[6:7], v[22:23], v[4:5]
	ds_read2_b64 v[4:7], v16 offset0:128 offset1:160
	ds_read_b128 v[20:23], v10 offset:96
	s_waitcnt lgkmcnt(0)
	v_fma_f64 v[4:5], v[20:21], v[4:5], v[24:25]
	v_fma_f64 v[24:25], v[22:23], v[6:7], v[4:5]
	ds_read_b128 v[4:7], v10 offset:112
	ds_read2_b64 v[20:23], v16 offset0:192 offset1:224
	s_waitcnt lgkmcnt(0)
	v_fma_f64 v[4:5], v[4:5], v[20:21], v[24:25]
	v_fma_f64 v[24:25], v[6:7], v[22:23], v[4:5]
	ds_read2_b64 v[4:7], v17 offset1:32
	ds_read_b128 v[20:23], v10 offset:128
	s_waitcnt lgkmcnt(0)
	v_fma_f64 v[4:5], v[20:21], v[4:5], v[24:25]
	v_fma_f64 v[24:25], v[22:23], v[6:7], v[4:5]
	ds_read_b128 v[4:7], v10 offset:144
	ds_read2_b64 v[20:23], v17 offset0:64 offset1:96
	s_waitcnt lgkmcnt(0)
	v_fma_f64 v[4:5], v[4:5], v[20:21], v[24:25]
	v_fma_f64 v[24:25], v[6:7], v[22:23], v[4:5]
	ds_read2_b64 v[4:7], v17 offset0:128 offset1:160
	ds_read_b128 v[20:23], v10 offset:160
	s_waitcnt lgkmcnt(0)
	v_fma_f64 v[4:5], v[20:21], v[4:5], v[24:25]
	v_fma_f64 v[24:25], v[22:23], v[6:7], v[4:5]
	ds_read_b128 v[4:7], v10 offset:176
	ds_read2_b64 v[20:23], v17 offset0:192 offset1:224
	s_waitcnt lgkmcnt(0)
	v_fma_f64 v[4:5], v[4:5], v[20:21], v[24:25]
	flat_load_dwordx2 v[24:25], v[2:3]
	v_fma_f64 v[26:27], v[6:7], v[22:23], v[4:5]
	ds_read2_b64 v[4:7], v18 offset1:32
	ds_read_b128 v[20:23], v10 offset:192
	s_waitcnt lgkmcnt(0)
	v_fma_f64 v[4:5], v[20:21], v[4:5], v[26:27]
	v_fma_f64 v[26:27], v[22:23], v[6:7], v[4:5]
	ds_read_b128 v[4:7], v10 offset:208
	ds_read2_b64 v[20:23], v18 offset0:64 offset1:96
	s_waitcnt lgkmcnt(0)
	v_fma_f64 v[4:5], v[4:5], v[20:21], v[26:27]
	v_fma_f64 v[26:27], v[6:7], v[22:23], v[4:5]
	ds_read2_b64 v[4:7], v18 offset0:128 offset1:160
	ds_read_b128 v[20:23], v10 offset:224
	s_waitcnt lgkmcnt(0)
	v_fma_f64 v[4:5], v[20:21], v[4:5], v[26:27]
	v_fma_f64 v[26:27], v[22:23], v[6:7], v[4:5]
	ds_read_b128 v[4:7], v10 offset:240
	ds_read2_b64 v[20:23], v18 offset0:192 offset1:224
	s_waitcnt lgkmcnt(0)
	v_fma_f64 v[4:5], v[4:5], v[20:21], v[26:27]
	v_fma_f64 v[4:5], v[6:7], v[22:23], v[4:5]
	s_waitcnt vmcnt(0)
	v_fma_f64 v[4:5], s[12:13], v[4:5], v[24:25]
	flat_store_dwordx2 v[2:3], v[4:5]
	s_branch .LBB43_6
.LBB43_13:
	s_endpgm
	.section	.rodata,"a",@progbits
	.p2align	6, 0x0
	.amdhsa_kernel _ZL24rocblas_symm_hemm_kernelILb0ELb1ELi32EdPKPKdPKPdEvbiiT2_T3_lllS8_lllT4_llli
		.amdhsa_group_segment_fixed_size 16384
		.amdhsa_private_segment_fixed_size 0
		.amdhsa_kernarg_size 384
		.amdhsa_user_sgpr_count 6
		.amdhsa_user_sgpr_private_segment_buffer 1
		.amdhsa_user_sgpr_dispatch_ptr 0
		.amdhsa_user_sgpr_queue_ptr 0
		.amdhsa_user_sgpr_kernarg_segment_ptr 1
		.amdhsa_user_sgpr_dispatch_id 0
		.amdhsa_user_sgpr_flat_scratch_init 0
		.amdhsa_user_sgpr_private_segment_size 0
		.amdhsa_uses_dynamic_stack 0
		.amdhsa_system_sgpr_private_segment_wavefront_offset 0
		.amdhsa_system_sgpr_workgroup_id_x 1
		.amdhsa_system_sgpr_workgroup_id_y 1
		.amdhsa_system_sgpr_workgroup_id_z 1
		.amdhsa_system_sgpr_workgroup_info 0
		.amdhsa_system_vgpr_workitem_id 1
		.amdhsa_next_free_vgpr 29
		.amdhsa_next_free_sgpr 61
		.amdhsa_reserve_vcc 1
		.amdhsa_reserve_flat_scratch 0
		.amdhsa_float_round_mode_32 0
		.amdhsa_float_round_mode_16_64 0
		.amdhsa_float_denorm_mode_32 3
		.amdhsa_float_denorm_mode_16_64 3
		.amdhsa_dx10_clamp 1
		.amdhsa_ieee_mode 1
		.amdhsa_fp16_overflow 0
		.amdhsa_exception_fp_ieee_invalid_op 0
		.amdhsa_exception_fp_denorm_src 0
		.amdhsa_exception_fp_ieee_div_zero 0
		.amdhsa_exception_fp_ieee_overflow 0
		.amdhsa_exception_fp_ieee_underflow 0
		.amdhsa_exception_fp_ieee_inexact 0
		.amdhsa_exception_int_div_zero 0
	.end_amdhsa_kernel
	.section	.text._ZL24rocblas_symm_hemm_kernelILb0ELb1ELi32EdPKPKdPKPdEvbiiT2_T3_lllS8_lllT4_llli,"axG",@progbits,_ZL24rocblas_symm_hemm_kernelILb0ELb1ELi32EdPKPKdPKPdEvbiiT2_T3_lllS8_lllT4_llli,comdat
.Lfunc_end43:
	.size	_ZL24rocblas_symm_hemm_kernelILb0ELb1ELi32EdPKPKdPKPdEvbiiT2_T3_lllS8_lllT4_llli, .Lfunc_end43-_ZL24rocblas_symm_hemm_kernelILb0ELb1ELi32EdPKPKdPKPdEvbiiT2_T3_lllS8_lllT4_llli
                                        ; -- End function
	.set _ZL24rocblas_symm_hemm_kernelILb0ELb1ELi32EdPKPKdPKPdEvbiiT2_T3_lllS8_lllT4_llli.num_vgpr, 28
	.set _ZL24rocblas_symm_hemm_kernelILb0ELb1ELi32EdPKPKdPKPdEvbiiT2_T3_lllS8_lllT4_llli.num_agpr, 0
	.set _ZL24rocblas_symm_hemm_kernelILb0ELb1ELi32EdPKPKdPKPdEvbiiT2_T3_lllS8_lllT4_llli.numbered_sgpr, 32
	.set _ZL24rocblas_symm_hemm_kernelILb0ELb1ELi32EdPKPKdPKPdEvbiiT2_T3_lllS8_lllT4_llli.num_named_barrier, 0
	.set _ZL24rocblas_symm_hemm_kernelILb0ELb1ELi32EdPKPKdPKPdEvbiiT2_T3_lllS8_lllT4_llli.private_seg_size, 0
	.set _ZL24rocblas_symm_hemm_kernelILb0ELb1ELi32EdPKPKdPKPdEvbiiT2_T3_lllS8_lllT4_llli.uses_vcc, 1
	.set _ZL24rocblas_symm_hemm_kernelILb0ELb1ELi32EdPKPKdPKPdEvbiiT2_T3_lllS8_lllT4_llli.uses_flat_scratch, 0
	.set _ZL24rocblas_symm_hemm_kernelILb0ELb1ELi32EdPKPKdPKPdEvbiiT2_T3_lllS8_lllT4_llli.has_dyn_sized_stack, 0
	.set _ZL24rocblas_symm_hemm_kernelILb0ELb1ELi32EdPKPKdPKPdEvbiiT2_T3_lllS8_lllT4_llli.has_recursion, 0
	.set _ZL24rocblas_symm_hemm_kernelILb0ELb1ELi32EdPKPKdPKPdEvbiiT2_T3_lllS8_lllT4_llli.has_indirect_call, 0
	.section	.AMDGPU.csdata,"",@progbits
; Kernel info:
; codeLenInByte = 1356
; TotalNumSgprs: 36
; NumVgprs: 28
; ScratchSize: 0
; MemoryBound: 0
; FloatMode: 240
; IeeeMode: 1
; LDSByteSize: 16384 bytes/workgroup (compile time only)
; SGPRBlocks: 8
; VGPRBlocks: 7
; NumSGPRsForWavesPerEU: 65
; NumVGPRsForWavesPerEU: 29
; Occupancy: 8
; WaveLimiterHint : 1
; COMPUTE_PGM_RSRC2:SCRATCH_EN: 0
; COMPUTE_PGM_RSRC2:USER_SGPR: 6
; COMPUTE_PGM_RSRC2:TRAP_HANDLER: 0
; COMPUTE_PGM_RSRC2:TGID_X_EN: 1
; COMPUTE_PGM_RSRC2:TGID_Y_EN: 1
; COMPUTE_PGM_RSRC2:TGID_Z_EN: 1
; COMPUTE_PGM_RSRC2:TIDIG_COMP_CNT: 1
	.section	.text._ZL25rocblas_symm_scale_kernelILi128ELi8EPK19rocblas_complex_numIfEPKPS1_EviiT1_T2_llli,"axG",@progbits,_ZL25rocblas_symm_scale_kernelILi128ELi8EPK19rocblas_complex_numIfEPKPS1_EviiT1_T2_llli,comdat
	.globl	_ZL25rocblas_symm_scale_kernelILi128ELi8EPK19rocblas_complex_numIfEPKPS1_EviiT1_T2_llli ; -- Begin function _ZL25rocblas_symm_scale_kernelILi128ELi8EPK19rocblas_complex_numIfEPKPS1_EviiT1_T2_llli
	.p2align	8
	.type	_ZL25rocblas_symm_scale_kernelILi128ELi8EPK19rocblas_complex_numIfEPKPS1_EviiT1_T2_llli,@function
_ZL25rocblas_symm_scale_kernelILi128ELi8EPK19rocblas_complex_numIfEPKPS1_EviiT1_T2_llli: ; @_ZL25rocblas_symm_scale_kernelILi128ELi8EPK19rocblas_complex_numIfEPKPS1_EviiT1_T2_llli
; %bb.0:
	s_load_dwordx8 s[12:19], s[4:5], 0x8
	s_waitcnt lgkmcnt(0)
	s_load_dwordx2 s[2:3], s[12:13], 0x0
	s_waitcnt lgkmcnt(0)
	v_cmp_eq_f32_e64 s[0:1], s2, 1.0
	v_cmp_eq_f32_e64 s[10:11], s3, 0
	s_and_b64 s[0:1], s[0:1], s[10:11]
	s_and_b64 vcc, exec, s[0:1]
	s_cbranch_vccnz .LBB44_6
; %bb.1:
	s_load_dwordx2 s[0:1], s[4:5], 0x0
	v_lshl_add_u32 v2, s6, 7, v0
	v_lshl_add_u32 v0, s7, 3, v1
	v_mov_b32_e32 v1, 0
	s_waitcnt lgkmcnt(0)
	s_ashr_i32 s7, s1, 31
	s_mov_b32 s6, s1
	v_cmp_gt_i64_e32 vcc, s[6:7], v[0:1]
	v_cmp_gt_u32_e64 s[0:1], s0, v2
	s_and_b64 s[0:1], s[0:1], vcc
	s_and_saveexec_b64 s[10:11], s[0:1]
	s_cbranch_execz .LBB44_6
; %bb.2:
	s_mov_b32 s9, 0
	s_lshl_b64 s[0:1], s[8:9], 3
	v_mad_u64_u32 v[4:5], s[8:9], s18, v0, 0
	s_load_dword s8, s[4:5], 0x3c
	s_add_u32 s0, s14, s0
	v_mov_b32_e32 v3, v5
	v_mad_u64_u32 v[5:6], s[4:5], s19, v0, v[3:4]
	s_addc_u32 s1, s15, s1
	s_or_b32 s10, s2, s3
	s_bitset0_b32 s10, 31
	s_cmp_lg_u32 s10, 0
	v_lshlrev_b64 v[4:5], 3, v[4:5]
	s_load_dwordx2 s[0:1], s[0:1], 0x0
	s_cselect_b64 s[12:13], -1, 0
	v_mov_b32_e32 v3, v1
	s_lshl_b64 s[4:5], s[16:17], 3
	v_mov_b32_e32 v6, s5
	v_add_co_u32_e32 v4, vcc, s4, v4
	v_lshlrev_b64 v[2:3], 3, v[2:3]
	v_addc_co_u32_e32 v5, vcc, v5, v6, vcc
	v_add_co_u32_e32 v2, vcc, v4, v2
	s_waitcnt lgkmcnt(0)
	s_lshl_b32 s10, s8, 3
	v_addc_co_u32_e32 v3, vcc, v5, v3, vcc
	v_mov_b32_e32 v4, s1
	v_add_co_u32_e32 v2, vcc, s0, v2
	s_mul_i32 s0, s19, s10
	s_mul_hi_u32 s1, s18, s10
	s_add_i32 s1, s1, s0
	s_mul_i32 s0, s18, s10
	v_addc_co_u32_e32 v3, vcc, v4, v3, vcc
	s_lshl_b64 s[4:5], s[0:1], 3
	v_cndmask_b32_e64 v4, 0, 1, s[12:13]
	s_mov_b64 s[8:9], 0
	v_cmp_ne_u32_e64 s[0:1], 1, v4
	v_mov_b32_e32 v6, s5
	s_branch .LBB44_4
.LBB44_3:                               ;   in Loop: Header=BB44_4 Depth=1
	v_add_co_u32_e32 v0, vcc, s10, v0
	v_addc_co_u32_e32 v1, vcc, 0, v1, vcc
	v_cmp_le_i64_e32 vcc, s[6:7], v[0:1]
	flat_store_dwordx2 v[2:3], v[4:5]
	s_or_b64 s[8:9], vcc, s[8:9]
	v_add_co_u32_e32 v2, vcc, s4, v2
	v_addc_co_u32_e32 v3, vcc, v3, v6, vcc
	s_andn2_b64 exec, exec, s[8:9]
	s_cbranch_execz .LBB44_6
.LBB44_4:                               ; =>This Inner Loop Header: Depth=1
	v_mov_b32_e32 v5, 0
	s_and_b64 vcc, exec, s[0:1]
	v_mov_b32_e32 v4, 0
	s_cbranch_vccnz .LBB44_3
; %bb.5:                                ;   in Loop: Header=BB44_4 Depth=1
	flat_load_dwordx2 v[7:8], v[2:3]
	s_waitcnt vmcnt(0) lgkmcnt(0)
	v_mul_f32_e32 v4, s3, v8
	v_mul_f32_e32 v5, s2, v8
	v_fma_f32 v4, v7, s2, -v4
	v_fmac_f32_e32 v5, s3, v7
	s_branch .LBB44_3
.LBB44_6:
	s_endpgm
	.section	.rodata,"a",@progbits
	.p2align	6, 0x0
	.amdhsa_kernel _ZL25rocblas_symm_scale_kernelILi128ELi8EPK19rocblas_complex_numIfEPKPS1_EviiT1_T2_llli
		.amdhsa_group_segment_fixed_size 0
		.amdhsa_private_segment_fixed_size 0
		.amdhsa_kernarg_size 312
		.amdhsa_user_sgpr_count 6
		.amdhsa_user_sgpr_private_segment_buffer 1
		.amdhsa_user_sgpr_dispatch_ptr 0
		.amdhsa_user_sgpr_queue_ptr 0
		.amdhsa_user_sgpr_kernarg_segment_ptr 1
		.amdhsa_user_sgpr_dispatch_id 0
		.amdhsa_user_sgpr_flat_scratch_init 0
		.amdhsa_user_sgpr_private_segment_size 0
		.amdhsa_uses_dynamic_stack 0
		.amdhsa_system_sgpr_private_segment_wavefront_offset 0
		.amdhsa_system_sgpr_workgroup_id_x 1
		.amdhsa_system_sgpr_workgroup_id_y 1
		.amdhsa_system_sgpr_workgroup_id_z 1
		.amdhsa_system_sgpr_workgroup_info 0
		.amdhsa_system_vgpr_workitem_id 1
		.amdhsa_next_free_vgpr 9
		.amdhsa_next_free_sgpr 20
		.amdhsa_reserve_vcc 1
		.amdhsa_reserve_flat_scratch 0
		.amdhsa_float_round_mode_32 0
		.amdhsa_float_round_mode_16_64 0
		.amdhsa_float_denorm_mode_32 3
		.amdhsa_float_denorm_mode_16_64 3
		.amdhsa_dx10_clamp 1
		.amdhsa_ieee_mode 1
		.amdhsa_fp16_overflow 0
		.amdhsa_exception_fp_ieee_invalid_op 0
		.amdhsa_exception_fp_denorm_src 0
		.amdhsa_exception_fp_ieee_div_zero 0
		.amdhsa_exception_fp_ieee_overflow 0
		.amdhsa_exception_fp_ieee_underflow 0
		.amdhsa_exception_fp_ieee_inexact 0
		.amdhsa_exception_int_div_zero 0
	.end_amdhsa_kernel
	.section	.text._ZL25rocblas_symm_scale_kernelILi128ELi8EPK19rocblas_complex_numIfEPKPS1_EviiT1_T2_llli,"axG",@progbits,_ZL25rocblas_symm_scale_kernelILi128ELi8EPK19rocblas_complex_numIfEPKPS1_EviiT1_T2_llli,comdat
.Lfunc_end44:
	.size	_ZL25rocblas_symm_scale_kernelILi128ELi8EPK19rocblas_complex_numIfEPKPS1_EviiT1_T2_llli, .Lfunc_end44-_ZL25rocblas_symm_scale_kernelILi128ELi8EPK19rocblas_complex_numIfEPKPS1_EviiT1_T2_llli
                                        ; -- End function
	.set _ZL25rocblas_symm_scale_kernelILi128ELi8EPK19rocblas_complex_numIfEPKPS1_EviiT1_T2_llli.num_vgpr, 9
	.set _ZL25rocblas_symm_scale_kernelILi128ELi8EPK19rocblas_complex_numIfEPKPS1_EviiT1_T2_llli.num_agpr, 0
	.set _ZL25rocblas_symm_scale_kernelILi128ELi8EPK19rocblas_complex_numIfEPKPS1_EviiT1_T2_llli.numbered_sgpr, 20
	.set _ZL25rocblas_symm_scale_kernelILi128ELi8EPK19rocblas_complex_numIfEPKPS1_EviiT1_T2_llli.num_named_barrier, 0
	.set _ZL25rocblas_symm_scale_kernelILi128ELi8EPK19rocblas_complex_numIfEPKPS1_EviiT1_T2_llli.private_seg_size, 0
	.set _ZL25rocblas_symm_scale_kernelILi128ELi8EPK19rocblas_complex_numIfEPKPS1_EviiT1_T2_llli.uses_vcc, 1
	.set _ZL25rocblas_symm_scale_kernelILi128ELi8EPK19rocblas_complex_numIfEPKPS1_EviiT1_T2_llli.uses_flat_scratch, 0
	.set _ZL25rocblas_symm_scale_kernelILi128ELi8EPK19rocblas_complex_numIfEPKPS1_EviiT1_T2_llli.has_dyn_sized_stack, 0
	.set _ZL25rocblas_symm_scale_kernelILi128ELi8EPK19rocblas_complex_numIfEPKPS1_EviiT1_T2_llli.has_recursion, 0
	.set _ZL25rocblas_symm_scale_kernelILi128ELi8EPK19rocblas_complex_numIfEPKPS1_EviiT1_T2_llli.has_indirect_call, 0
	.section	.AMDGPU.csdata,"",@progbits
; Kernel info:
; codeLenInByte = 392
; TotalNumSgprs: 24
; NumVgprs: 9
; ScratchSize: 0
; MemoryBound: 0
; FloatMode: 240
; IeeeMode: 1
; LDSByteSize: 0 bytes/workgroup (compile time only)
; SGPRBlocks: 2
; VGPRBlocks: 2
; NumSGPRsForWavesPerEU: 24
; NumVGPRsForWavesPerEU: 9
; Occupancy: 10
; WaveLimiterHint : 0
; COMPUTE_PGM_RSRC2:SCRATCH_EN: 0
; COMPUTE_PGM_RSRC2:USER_SGPR: 6
; COMPUTE_PGM_RSRC2:TRAP_HANDLER: 0
; COMPUTE_PGM_RSRC2:TGID_X_EN: 1
; COMPUTE_PGM_RSRC2:TGID_Y_EN: 1
; COMPUTE_PGM_RSRC2:TGID_Z_EN: 1
; COMPUTE_PGM_RSRC2:TIDIG_COMP_CNT: 1
	.section	.text._ZL24rocblas_symm_hemm_kernelILb0ELb0ELi32EPK19rocblas_complex_numIfEPKS3_PKPS1_EvbiiT2_T3_lllSA_lllT4_llli,"axG",@progbits,_ZL24rocblas_symm_hemm_kernelILb0ELb0ELi32EPK19rocblas_complex_numIfEPKS3_PKPS1_EvbiiT2_T3_lllSA_lllT4_llli,comdat
	.globl	_ZL24rocblas_symm_hemm_kernelILb0ELb0ELi32EPK19rocblas_complex_numIfEPKS3_PKPS1_EvbiiT2_T3_lllSA_lllT4_llli ; -- Begin function _ZL24rocblas_symm_hemm_kernelILb0ELb0ELi32EPK19rocblas_complex_numIfEPKS3_PKPS1_EvbiiT2_T3_lllSA_lllT4_llli
	.p2align	8
	.type	_ZL24rocblas_symm_hemm_kernelILb0ELb0ELi32EPK19rocblas_complex_numIfEPKS3_PKPS1_EvbiiT2_T3_lllSA_lllT4_llli,@function
_ZL24rocblas_symm_hemm_kernelILb0ELb0ELi32EPK19rocblas_complex_numIfEPKS3_PKPS1_EvbiiT2_T3_lllSA_lllT4_llli: ; @_ZL24rocblas_symm_hemm_kernelILb0ELb0ELi32EPK19rocblas_complex_numIfEPKS3_PKPS1_EvbiiT2_T3_lllSA_lllT4_llli
; %bb.0:
	s_load_dwordx8 s[12:19], s[4:5], 0x10
	s_waitcnt lgkmcnt(0)
	s_load_dwordx2 s[10:11], s[12:13], 0x0
	s_waitcnt lgkmcnt(0)
	v_cmp_eq_f32_e64 s[0:1], s10, 0
	v_cmp_eq_f32_e64 s[2:3], s11, 0
	s_and_b64 s[0:1], s[0:1], s[2:3]
	s_and_b64 vcc, exec, s[0:1]
	s_cbranch_vccnz .LBB45_13
; %bb.1:
	s_load_dwordx4 s[20:23], s[4:5], 0x0
	s_waitcnt lgkmcnt(0)
	s_add_i32 s0, s22, -1
	s_ashr_i32 s1, s0, 31
	s_lshr_b32 s1, s1, 27
	s_add_i32 s0, s0, s1
	s_ashr_i32 s23, s0, 5
	s_cmp_gt_i32 s7, s23
	s_cbranch_scc1 .LBB45_13
; %bb.2:
	s_mov_b32 s9, 0
	s_lshl_b64 s[8:9], s[8:9], 3
	s_add_u32 s14, s14, s8
	s_addc_u32 s15, s15, s9
	s_load_dwordx2 s[24:25], s[14:15], 0x0
	s_load_dwordx4 s[0:3], s[4:5], 0x38
	s_load_dwordx2 s[12:13], s[4:5], 0x48
	s_lshl_b64 s[14:15], s[16:17], 3
	v_lshl_add_u32 v14, s6, 5, v0
	s_waitcnt lgkmcnt(0)
	s_add_u32 s26, s24, s14
	s_addc_u32 s27, s25, s15
	s_add_u32 s0, s0, s8
	s_addc_u32 s1, s1, s9
	s_load_dwordx2 s[16:17], s[0:1], 0x0
	s_load_dwordx4 s[36:39], s[4:5], 0x58
	s_load_dwordx2 s[14:15], s[4:5], 0x68
	s_lshl_b64 s[0:1], s[2:3], 3
	v_lshlrev_b32_e32 v17, 8, v0
	s_waitcnt lgkmcnt(0)
	s_add_u32 s6, s16, s0
	s_addc_u32 s28, s17, s1
	s_add_u32 s0, s36, s8
	s_addc_u32 s1, s37, s9
	s_load_dwordx2 s[2:3], s[0:1], 0x0
	s_bitcmp1_b32 s20, 0
	s_cselect_b64 s[0:1], -1, 0
	s_lshl_b64 s[8:9], s[38:39], 3
	v_lshlrev_b32_e32 v2, 3, v1
	s_waitcnt lgkmcnt(0)
	s_add_u32 s8, s2, s8
	s_addc_u32 s9, s3, s9
	v_ashrrev_i32_e32 v15, 31, v14
	s_load_dword s20, s[4:5], 0x84
	s_cmp_gt_i32 s21, 0
	v_add_u32_e32 v18, v17, v2
	v_or_b32_e32 v19, 0x2000, v2
	v_lshlrev_b64 v[2:3], 3, v[14:15]
	s_cselect_b64 s[4:5], -1, 0
	v_mov_b32_e32 v4, s9
	v_add_co_u32_e32 v21, vcc, s8, v2
	v_cndmask_b32_e64 v2, 0, 1, s[4:5]
	v_add_u32_e32 v20, v19, v17
	v_cmp_gt_i32_e64 s[2:3], s21, v14
	v_addc_co_u32_e32 v22, vcc, v4, v3, vcc
	v_cmp_ne_u32_e64 s[4:5], 1, v2
	v_add_u32_e32 v23, 0x800, v19
	v_add_u32_e32 v24, 0x1000, v19
	;; [unrolled: 1-line block ×3, first 2 shown]
	s_branch .LBB45_4
.LBB45_3:                               ;   in Loop: Header=BB45_4 Depth=1
	s_waitcnt lgkmcnt(0)
	s_add_i32 s7, s7, s20
	s_cmp_gt_i32 s7, s23
	s_cbranch_scc1 .LBB45_13
.LBB45_4:                               ; =>This Loop Header: Depth=1
                                        ;     Child Loop BB45_7 Depth 2
	s_and_b64 vcc, exec, s[4:5]
	s_cbranch_vccnz .LBB45_3
; %bb.5:                                ;   in Loop: Header=BB45_4 Depth=1
	v_lshl_add_u32 v4, s7, 5, v1
	v_ashrrev_i32_e32 v5, 31, v4
	v_mul_lo_u32 v6, s12, v5
	v_mul_lo_u32 v7, s13, v4
	v_mad_u64_u32 v[2:3], s[8:9], s12, v4, 0
	v_cmp_gt_i32_e32 vcc, s22, v4
	v_mul_lo_u32 v8, s15, v4
	v_add3_u32 v3, v3, v6, v7
	v_mul_lo_u32 v7, s14, v5
	v_mad_u64_u32 v[4:5], s[8:9], s14, v4, 0
	v_lshlrev_b64 v[2:3], 3, v[2:3]
	v_mov_b32_e32 v6, s28
	v_add_co_u32_e64 v26, s[8:9], s6, v2
	v_add3_u32 v5, v5, v7, v8
	v_addc_co_u32_e64 v27, s[8:9], v6, v3, s[8:9]
	v_lshlrev_b64 v[2:3], 3, v[4:5]
	s_and_b64 s[16:17], s[2:3], vcc
	v_add_co_u32_e64 v15, s[8:9], v21, v2
	v_addc_co_u32_e64 v16, s[8:9], v22, v3, s[8:9]
	s_mov_b32 s29, 0
	s_branch .LBB45_7
.LBB45_6:                               ;   in Loop: Header=BB45_7 Depth=2
	s_or_b64 exec, exec, s[8:9]
	s_add_i32 s29, s29, 32
	s_cmp_ge_i32 s29, s21
	s_waitcnt vmcnt(0) lgkmcnt(0)
	s_barrier
	s_cbranch_scc1 .LBB45_3
.LBB45_7:                               ;   Parent Loop BB45_4 Depth=1
                                        ; =>  This Inner Loop Header: Depth=2
	v_add_u32_e32 v2, s29, v1
	v_cndmask_b32_e64 v3, v2, v14, s[0:1]
	v_cndmask_b32_e64 v4, v14, v2, s[0:1]
	v_cmp_gt_i32_e64 s[8:9], v3, v4
	v_cndmask_b32_e64 v3, v14, v2, s[8:9]
	v_cndmask_b32_e64 v6, v2, v14, s[8:9]
	v_max_i32_e32 v2, v3, v6
	v_cmp_gt_i32_e64 s[8:9], s21, v2
	v_mov_b32_e32 v2, 0
	v_mov_b32_e32 v4, 0
	;; [unrolled: 1-line block ×3, first 2 shown]
	s_and_saveexec_b64 s[24:25], s[8:9]
	s_cbranch_execz .LBB45_9
; %bb.8:                                ;   in Loop: Header=BB45_7 Depth=2
	v_ashrrev_i32_e32 v4, 31, v6
	v_mul_lo_u32 v7, s19, v6
	v_mad_u64_u32 v[5:6], s[8:9], s18, v6, 0
	v_mul_lo_u32 v4, s18, v4
	v_add3_u32 v6, v6, v4, v7
	v_lshlrev_b64 v[5:6], 3, v[5:6]
	v_ashrrev_i32_e32 v4, 31, v3
	v_mov_b32_e32 v7, s27
	v_add_co_u32_e64 v5, s[8:9], s26, v5
	v_lshlrev_b64 v[3:4], 3, v[3:4]
	v_addc_co_u32_e64 v6, s[8:9], v7, v6, s[8:9]
	v_add_co_u32_e64 v3, s[8:9], v5, v3
	v_addc_co_u32_e64 v4, s[8:9], v6, v4, s[8:9]
	flat_load_dwordx2 v[4:5], v[3:4]
.LBB45_9:                               ;   in Loop: Header=BB45_7 Depth=2
	s_or_b64 exec, exec, s[24:25]
	s_waitcnt vmcnt(0) lgkmcnt(0)
	ds_write_b64 v18, v[4:5]
	v_add_u32_e32 v4, s29, v0
	v_cmp_gt_i32_e64 s[8:9], s21, v4
	s_and_b64 s[8:9], s[8:9], vcc
	v_mov_b32_e32 v3, 0
	s_and_saveexec_b64 s[24:25], s[8:9]
	s_cbranch_execz .LBB45_11
; %bb.10:                               ;   in Loop: Header=BB45_7 Depth=2
	v_ashrrev_i32_e32 v5, 31, v4
	v_lshlrev_b64 v[2:3], 3, v[4:5]
	v_add_co_u32_e64 v2, s[8:9], v26, v2
	v_addc_co_u32_e64 v3, s[8:9], v27, v3, s[8:9]
	flat_load_dwordx2 v[2:3], v[2:3]
.LBB45_11:                              ;   in Loop: Header=BB45_7 Depth=2
	s_or_b64 exec, exec, s[24:25]
	s_waitcnt vmcnt(0) lgkmcnt(0)
	ds_write_b64 v20, v[2:3]
	s_waitcnt lgkmcnt(0)
	s_barrier
	s_and_saveexec_b64 s[8:9], s[16:17]
	s_cbranch_execz .LBB45_6
; %bb.12:                               ;   in Loop: Header=BB45_7 Depth=2
	ds_read2_b64 v[2:5], v19 offset1:32
	ds_read_b128 v[6:9], v17
	ds_read_b128 v[10:13], v17 offset:16
	s_waitcnt lgkmcnt(1)
	v_mul_f32_e32 v28, v3, v7
	v_fma_f32 v33, v2, v6, -v28
	ds_read2_b64 v[28:31], v19 offset0:64 offset1:96
	v_mul_f32_e32 v32, v2, v7
	v_mul_f32_e32 v2, v5, v9
	v_fma_f32 v34, v4, v8, -v2
	v_fmac_f32_e32 v32, v3, v6
	s_waitcnt lgkmcnt(0)
	v_mul_f32_e32 v2, v29, v11
	v_mul_f32_e32 v35, v4, v9
	v_fma_f32 v36, v28, v10, -v2
	v_mul_f32_e32 v28, v28, v11
	v_mul_f32_e32 v2, v31, v13
	v_fmac_f32_e32 v35, v5, v8
	v_fmac_f32_e32 v28, v29, v10
	v_fma_f32 v29, v30, v12, -v2
	v_mul_f32_e32 v30, v30, v13
	v_add_f32_e32 v10, 0, v33
	v_add_f32_e32 v11, 0, v32
	v_fmac_f32_e32 v30, v31, v12
	ds_read_b128 v[2:5], v17 offset:32
	ds_read_b128 v[6:9], v17 offset:48
	v_add_f32_e32 v31, v10, v34
	v_add_f32_e32 v32, v11, v35
	ds_read2_b64 v[10:13], v19 offset0:128 offset1:160
	v_add_f32_e32 v28, v32, v28
	v_add_f32_e32 v31, v31, v36
	;; [unrolled: 1-line block ×4, first 2 shown]
	s_waitcnt lgkmcnt(0)
	v_mul_f32_e32 v30, v11, v3
	v_mul_f32_e32 v3, v10, v3
	v_fma_f32 v30, v10, v2, -v30
	v_fmac_f32_e32 v3, v11, v2
	v_add_f32_e32 v2, v29, v30
	v_add_f32_e32 v3, v28, v3
	ds_read2_b64 v[28:31], v19 offset0:192 offset1:224
	v_mul_f32_e32 v10, v13, v5
	v_mul_f32_e32 v5, v12, v5
	v_fma_f32 v10, v12, v4, -v10
	v_fmac_f32_e32 v5, v13, v4
	s_waitcnt lgkmcnt(0)
	v_mul_f32_e32 v4, v29, v7
	v_add_f32_e32 v2, v2, v10
	v_add_f32_e32 v3, v3, v5
	v_fma_f32 v4, v28, v6, -v4
	v_mul_f32_e32 v5, v28, v7
	v_fmac_f32_e32 v5, v29, v6
	v_add_f32_e32 v6, v2, v4
	v_mul_f32_e32 v2, v31, v9
	v_add_f32_e32 v7, v3, v5
	v_fma_f32 v13, v30, v8, -v2
	v_mul_f32_e32 v28, v30, v9
	ds_read_b128 v[2:5], v17 offset:64
	ds_read2_b64 v[9:12], v23 offset1:32
	v_fmac_f32_e32 v28, v31, v8
	v_add_f32_e32 v6, v6, v13
	v_add_f32_e32 v7, v7, v28
	ds_read_b128 v[28:31], v17 offset:80
	s_waitcnt lgkmcnt(1)
	v_mul_f32_e32 v8, v10, v3
	v_fma_f32 v8, v9, v2, -v8
	v_mul_f32_e32 v3, v9, v3
	v_fmac_f32_e32 v3, v10, v2
	v_add_f32_e32 v2, v6, v8
	v_mul_f32_e32 v6, v12, v5
	v_add_f32_e32 v3, v7, v3
	v_fma_f32 v10, v11, v4, -v6
	ds_read2_b64 v[6:9], v23 offset0:64 offset1:96
	v_mul_f32_e32 v5, v11, v5
	v_fmac_f32_e32 v5, v12, v4
	v_add_f32_e32 v2, v2, v10
	v_add_f32_e32 v3, v3, v5
	s_waitcnt lgkmcnt(0)
	v_mul_f32_e32 v4, v7, v29
	v_fma_f32 v4, v6, v28, -v4
	v_mul_f32_e32 v5, v6, v29
	v_fmac_f32_e32 v5, v7, v28
	v_add_f32_e32 v6, v2, v4
	v_mul_f32_e32 v2, v9, v31
	v_add_f32_e32 v7, v3, v5
	v_fma_f32 v28, v8, v30, -v2
	ds_read_b128 v[2:5], v17 offset:96
	ds_read2_b64 v[10:13], v23 offset0:128 offset1:160
	v_mul_f32_e32 v8, v8, v31
	v_fmac_f32_e32 v8, v9, v30
	v_add_f32_e32 v28, v6, v28
	v_add_f32_e32 v29, v7, v8
	s_waitcnt lgkmcnt(0)
	v_mul_f32_e32 v30, v11, v3
	v_mul_f32_e32 v3, v10, v3
	v_fma_f32 v30, v10, v2, -v30
	v_fmac_f32_e32 v3, v11, v2
	ds_read_b128 v[6:9], v17 offset:112
	v_add_f32_e32 v2, v28, v30
	v_add_f32_e32 v3, v29, v3
	ds_read2_b64 v[28:31], v23 offset0:192 offset1:224
	v_mul_f32_e32 v10, v13, v5
	v_mul_f32_e32 v5, v12, v5
	v_fma_f32 v10, v12, v4, -v10
	v_fmac_f32_e32 v5, v13, v4
	s_waitcnt lgkmcnt(0)
	v_mul_f32_e32 v4, v29, v7
	v_add_f32_e32 v2, v2, v10
	v_add_f32_e32 v3, v3, v5
	v_fma_f32 v4, v28, v6, -v4
	v_mul_f32_e32 v5, v28, v7
	v_fmac_f32_e32 v5, v29, v6
	v_add_f32_e32 v6, v2, v4
	v_mul_f32_e32 v2, v31, v9
	v_add_f32_e32 v7, v3, v5
	v_fma_f32 v13, v30, v8, -v2
	v_mul_f32_e32 v28, v30, v9
	ds_read_b128 v[2:5], v17 offset:128
	ds_read2_b64 v[9:12], v24 offset1:32
	v_fmac_f32_e32 v28, v31, v8
	v_add_f32_e32 v6, v6, v13
	v_add_f32_e32 v7, v7, v28
	ds_read_b128 v[28:31], v17 offset:144
	s_waitcnt lgkmcnt(1)
	v_mul_f32_e32 v8, v10, v3
	v_fma_f32 v8, v9, v2, -v8
	v_mul_f32_e32 v3, v9, v3
	ds_read2_b64 v[32:35], v24 offset0:64 offset1:96
	v_fmac_f32_e32 v3, v10, v2
	v_add_f32_e32 v2, v6, v8
	v_mul_f32_e32 v6, v12, v5
	v_fma_f32 v6, v11, v4, -v6
	v_mul_f32_e32 v5, v11, v5
	v_add_f32_e32 v3, v7, v3
	v_fmac_f32_e32 v5, v12, v4
	v_add_f32_e32 v2, v2, v6
	ds_read_b128 v[6:9], v17 offset:160
	ds_read2_b64 v[10:13], v24 offset0:128 offset1:160
	v_add_f32_e32 v3, v3, v5
	s_waitcnt lgkmcnt(2)
	v_mul_f32_e32 v4, v33, v29
	v_mul_f32_e32 v5, v32, v29
	v_fma_f32 v4, v32, v28, -v4
	v_fmac_f32_e32 v5, v33, v28
	v_add_f32_e32 v2, v2, v4
	v_add_f32_e32 v3, v3, v5
	v_mul_f32_e32 v4, v35, v31
	v_mul_f32_e32 v5, v34, v31
	v_fma_f32 v4, v34, v30, -v4
	v_fmac_f32_e32 v5, v35, v30
	s_waitcnt lgkmcnt(0)
	v_mul_f32_e32 v30, v11, v7
	v_mul_f32_e32 v31, v10, v7
	v_fma_f32 v30, v10, v6, -v30
	v_fmac_f32_e32 v31, v11, v6
	v_mul_f32_e32 v6, v13, v9
	v_fma_f32 v32, v12, v8, -v6
	flat_load_dwordx2 v[6:7], v[15:16]
	v_mul_f32_e32 v12, v12, v9
	v_add_f32_e32 v28, v2, v4
	v_add_f32_e32 v29, v3, v5
	ds_read_b128 v[2:5], v17 offset:176
	v_fmac_f32_e32 v12, v13, v8
	ds_read2_b64 v[8:11], v24 offset0:192 offset1:224
	v_add_f32_e32 v13, v28, v30
	v_add_f32_e32 v28, v29, v31
	;; [unrolled: 1-line block ×4, first 2 shown]
	s_waitcnt lgkmcnt(0)
	v_mul_f32_e32 v28, v9, v3
	v_mul_f32_e32 v29, v8, v3
	v_fma_f32 v28, v8, v2, -v28
	v_fmac_f32_e32 v29, v9, v2
	v_mul_f32_e32 v2, v11, v5
	v_mul_f32_e32 v30, v10, v5
	v_add_f32_e32 v13, v13, v28
	v_fma_f32 v28, v10, v4, -v2
	v_fmac_f32_e32 v30, v11, v4
	ds_read_b128 v[2:5], v17 offset:192
	ds_read2_b64 v[8:11], v25 offset1:32
	v_add_f32_e32 v12, v12, v29
	v_add_f32_e32 v13, v13, v28
	;; [unrolled: 1-line block ×3, first 2 shown]
	ds_read_b128 v[28:31], v17 offset:208
	s_waitcnt lgkmcnt(0)
	v_mul_f32_e32 v32, v9, v3
	v_fma_f32 v32, v8, v2, -v32
	v_mul_f32_e32 v8, v8, v3
	v_fmac_f32_e32 v8, v9, v2
	v_mul_f32_e32 v2, v11, v5
	v_fma_f32 v9, v10, v4, -v2
	v_mul_f32_e32 v10, v10, v5
	v_fmac_f32_e32 v10, v11, v4
	ds_read2_b64 v[2:5], v25 offset0:64 offset1:96
	v_add_f32_e32 v8, v12, v8
	v_add_f32_e32 v11, v13, v32
	v_add_f32_e32 v12, v8, v10
	v_add_f32_e32 v9, v11, v9
	s_waitcnt lgkmcnt(0)
	v_mul_f32_e32 v8, v3, v29
	v_fma_f32 v8, v2, v28, -v8
	v_mul_f32_e32 v13, v2, v29
	v_mul_f32_e32 v2, v5, v31
	;; [unrolled: 1-line block ×3, first 2 shown]
	v_fmac_f32_e32 v13, v3, v28
	v_add_f32_e32 v28, v9, v8
	v_fma_f32 v29, v4, v30, -v2
	v_fmac_f32_e32 v31, v5, v30
	ds_read_b128 v[2:5], v17 offset:224
	ds_read2_b64 v[8:11], v25 offset0:128 offset1:160
	v_add_f32_e32 v12, v12, v13
	v_add_f32_e32 v13, v28, v29
	;; [unrolled: 1-line block ×3, first 2 shown]
	ds_read_b128 v[28:31], v17 offset:240
	s_waitcnt lgkmcnt(0)
	v_mul_f32_e32 v32, v9, v3
	v_fma_f32 v32, v8, v2, -v32
	v_mul_f32_e32 v8, v8, v3
	v_fmac_f32_e32 v8, v9, v2
	v_mul_f32_e32 v2, v11, v5
	v_fma_f32 v9, v10, v4, -v2
	v_mul_f32_e32 v10, v10, v5
	v_fmac_f32_e32 v10, v11, v4
	ds_read2_b64 v[2:5], v25 offset0:192 offset1:224
	v_add_f32_e32 v8, v12, v8
	v_add_f32_e32 v8, v8, v10
	;; [unrolled: 1-line block ×4, first 2 shown]
	s_waitcnt lgkmcnt(0)
	v_mul_f32_e32 v10, v3, v29
	v_fma_f32 v10, v2, v28, -v10
	v_mul_f32_e32 v2, v2, v29
	v_fmac_f32_e32 v2, v3, v28
	v_add_f32_e32 v2, v8, v2
	v_mul_f32_e32 v8, v5, v31
	v_fma_f32 v8, v4, v30, -v8
	v_mul_f32_e32 v4, v4, v31
	v_fmac_f32_e32 v4, v5, v30
	v_add_f32_e32 v3, v9, v10
	v_add_f32_e32 v2, v2, v4
	;; [unrolled: 1-line block ×3, first 2 shown]
	v_mul_f32_e32 v4, s11, v2
	v_fma_f32 v4, s10, v3, -v4
	v_mul_f32_e32 v3, s11, v3
	v_fmac_f32_e32 v3, s10, v2
	s_waitcnt vmcnt(0)
	v_add_f32_e32 v2, v6, v4
	v_add_f32_e32 v3, v7, v3
	flat_store_dwordx2 v[15:16], v[2:3]
	s_branch .LBB45_6
.LBB45_13:
	s_endpgm
	.section	.rodata,"a",@progbits
	.p2align	6, 0x0
	.amdhsa_kernel _ZL24rocblas_symm_hemm_kernelILb0ELb0ELi32EPK19rocblas_complex_numIfEPKS3_PKPS1_EvbiiT2_T3_lllSA_lllT4_llli
		.amdhsa_group_segment_fixed_size 16384
		.amdhsa_private_segment_fixed_size 0
		.amdhsa_kernarg_size 384
		.amdhsa_user_sgpr_count 6
		.amdhsa_user_sgpr_private_segment_buffer 1
		.amdhsa_user_sgpr_dispatch_ptr 0
		.amdhsa_user_sgpr_queue_ptr 0
		.amdhsa_user_sgpr_kernarg_segment_ptr 1
		.amdhsa_user_sgpr_dispatch_id 0
		.amdhsa_user_sgpr_flat_scratch_init 0
		.amdhsa_user_sgpr_private_segment_size 0
		.amdhsa_uses_dynamic_stack 0
		.amdhsa_system_sgpr_private_segment_wavefront_offset 0
		.amdhsa_system_sgpr_workgroup_id_x 1
		.amdhsa_system_sgpr_workgroup_id_y 1
		.amdhsa_system_sgpr_workgroup_id_z 1
		.amdhsa_system_sgpr_workgroup_info 0
		.amdhsa_system_vgpr_workitem_id 1
		.amdhsa_next_free_vgpr 37
		.amdhsa_next_free_sgpr 61
		.amdhsa_reserve_vcc 1
		.amdhsa_reserve_flat_scratch 0
		.amdhsa_float_round_mode_32 0
		.amdhsa_float_round_mode_16_64 0
		.amdhsa_float_denorm_mode_32 3
		.amdhsa_float_denorm_mode_16_64 3
		.amdhsa_dx10_clamp 1
		.amdhsa_ieee_mode 1
		.amdhsa_fp16_overflow 0
		.amdhsa_exception_fp_ieee_invalid_op 0
		.amdhsa_exception_fp_denorm_src 0
		.amdhsa_exception_fp_ieee_div_zero 0
		.amdhsa_exception_fp_ieee_overflow 0
		.amdhsa_exception_fp_ieee_underflow 0
		.amdhsa_exception_fp_ieee_inexact 0
		.amdhsa_exception_int_div_zero 0
	.end_amdhsa_kernel
	.section	.text._ZL24rocblas_symm_hemm_kernelILb0ELb0ELi32EPK19rocblas_complex_numIfEPKS3_PKPS1_EvbiiT2_T3_lllSA_lllT4_llli,"axG",@progbits,_ZL24rocblas_symm_hemm_kernelILb0ELb0ELi32EPK19rocblas_complex_numIfEPKS3_PKPS1_EvbiiT2_T3_lllSA_lllT4_llli,comdat
.Lfunc_end45:
	.size	_ZL24rocblas_symm_hemm_kernelILb0ELb0ELi32EPK19rocblas_complex_numIfEPKS3_PKPS1_EvbiiT2_T3_lllSA_lllT4_llli, .Lfunc_end45-_ZL24rocblas_symm_hemm_kernelILb0ELb0ELi32EPK19rocblas_complex_numIfEPKS3_PKPS1_EvbiiT2_T3_lllSA_lllT4_llli
                                        ; -- End function
	.set _ZL24rocblas_symm_hemm_kernelILb0ELb0ELi32EPK19rocblas_complex_numIfEPKS3_PKPS1_EvbiiT2_T3_lllSA_lllT4_llli.num_vgpr, 37
	.set _ZL24rocblas_symm_hemm_kernelILb0ELb0ELi32EPK19rocblas_complex_numIfEPKS3_PKPS1_EvbiiT2_T3_lllSA_lllT4_llli.num_agpr, 0
	.set _ZL24rocblas_symm_hemm_kernelILb0ELb0ELi32EPK19rocblas_complex_numIfEPKS3_PKPS1_EvbiiT2_T3_lllSA_lllT4_llli.numbered_sgpr, 40
	.set _ZL24rocblas_symm_hemm_kernelILb0ELb0ELi32EPK19rocblas_complex_numIfEPKS3_PKPS1_EvbiiT2_T3_lllSA_lllT4_llli.num_named_barrier, 0
	.set _ZL24rocblas_symm_hemm_kernelILb0ELb0ELi32EPK19rocblas_complex_numIfEPKS3_PKPS1_EvbiiT2_T3_lllSA_lllT4_llli.private_seg_size, 0
	.set _ZL24rocblas_symm_hemm_kernelILb0ELb0ELi32EPK19rocblas_complex_numIfEPKS3_PKPS1_EvbiiT2_T3_lllSA_lllT4_llli.uses_vcc, 1
	.set _ZL24rocblas_symm_hemm_kernelILb0ELb0ELi32EPK19rocblas_complex_numIfEPKS3_PKPS1_EvbiiT2_T3_lllSA_lllT4_llli.uses_flat_scratch, 0
	.set _ZL24rocblas_symm_hemm_kernelILb0ELb0ELi32EPK19rocblas_complex_numIfEPKS3_PKPS1_EvbiiT2_T3_lllSA_lllT4_llli.has_dyn_sized_stack, 0
	.set _ZL24rocblas_symm_hemm_kernelILb0ELb0ELi32EPK19rocblas_complex_numIfEPKS3_PKPS1_EvbiiT2_T3_lllSA_lllT4_llli.has_recursion, 0
	.set _ZL24rocblas_symm_hemm_kernelILb0ELb0ELi32EPK19rocblas_complex_numIfEPKS3_PKPS1_EvbiiT2_T3_lllSA_lllT4_llli.has_indirect_call, 0
	.section	.AMDGPU.csdata,"",@progbits
; Kernel info:
; codeLenInByte = 2112
; TotalNumSgprs: 44
; NumVgprs: 37
; ScratchSize: 0
; MemoryBound: 0
; FloatMode: 240
; IeeeMode: 1
; LDSByteSize: 16384 bytes/workgroup (compile time only)
; SGPRBlocks: 8
; VGPRBlocks: 9
; NumSGPRsForWavesPerEU: 65
; NumVGPRsForWavesPerEU: 37
; Occupancy: 6
; WaveLimiterHint : 1
; COMPUTE_PGM_RSRC2:SCRATCH_EN: 0
; COMPUTE_PGM_RSRC2:USER_SGPR: 6
; COMPUTE_PGM_RSRC2:TRAP_HANDLER: 0
; COMPUTE_PGM_RSRC2:TGID_X_EN: 1
; COMPUTE_PGM_RSRC2:TGID_Y_EN: 1
; COMPUTE_PGM_RSRC2:TGID_Z_EN: 1
; COMPUTE_PGM_RSRC2:TIDIG_COMP_CNT: 1
	.section	.text._ZL24rocblas_symm_hemm_kernelILb0ELb1ELi32EPK19rocblas_complex_numIfEPKS3_PKPS1_EvbiiT2_T3_lllSA_lllT4_llli,"axG",@progbits,_ZL24rocblas_symm_hemm_kernelILb0ELb1ELi32EPK19rocblas_complex_numIfEPKS3_PKPS1_EvbiiT2_T3_lllSA_lllT4_llli,comdat
	.globl	_ZL24rocblas_symm_hemm_kernelILb0ELb1ELi32EPK19rocblas_complex_numIfEPKS3_PKPS1_EvbiiT2_T3_lllSA_lllT4_llli ; -- Begin function _ZL24rocblas_symm_hemm_kernelILb0ELb1ELi32EPK19rocblas_complex_numIfEPKS3_PKPS1_EvbiiT2_T3_lllSA_lllT4_llli
	.p2align	8
	.type	_ZL24rocblas_symm_hemm_kernelILb0ELb1ELi32EPK19rocblas_complex_numIfEPKS3_PKPS1_EvbiiT2_T3_lllSA_lllT4_llli,@function
_ZL24rocblas_symm_hemm_kernelILb0ELb1ELi32EPK19rocblas_complex_numIfEPKS3_PKPS1_EvbiiT2_T3_lllSA_lllT4_llli: ; @_ZL24rocblas_symm_hemm_kernelILb0ELb1ELi32EPK19rocblas_complex_numIfEPKS3_PKPS1_EvbiiT2_T3_lllSA_lllT4_llli
; %bb.0:
	s_load_dwordx8 s[12:19], s[4:5], 0x10
	s_waitcnt lgkmcnt(0)
	s_load_dwordx2 s[10:11], s[12:13], 0x0
	s_waitcnt lgkmcnt(0)
	v_cmp_eq_f32_e64 s[0:1], s10, 0
	v_cmp_eq_f32_e64 s[2:3], s11, 0
	s_and_b64 s[0:1], s[0:1], s[2:3]
	s_and_b64 vcc, exec, s[0:1]
	s_cbranch_vccnz .LBB46_13
; %bb.1:
	s_load_dwordx4 s[20:23], s[4:5], 0x0
	s_waitcnt lgkmcnt(0)
	s_add_i32 s0, s22, -1
	s_ashr_i32 s1, s0, 31
	s_lshr_b32 s1, s1, 27
	s_add_i32 s0, s0, s1
	s_ashr_i32 s23, s0, 5
	s_cmp_gt_i32 s7, s23
	s_cbranch_scc1 .LBB46_13
; %bb.2:
	s_mov_b32 s9, 0
	s_lshl_b64 s[26:27], s[8:9], 3
	s_add_u32 s14, s14, s26
	s_addc_u32 s15, s15, s27
	s_load_dwordx2 s[24:25], s[14:15], 0x0
	s_load_dwordx4 s[0:3], s[4:5], 0x38
	s_load_dwordx2 s[8:9], s[4:5], 0x48
	s_load_dwordx4 s[28:31], s[4:5], 0x58
	s_load_dwordx2 s[12:13], s[4:5], 0x68
	s_lshl_b64 s[14:15], s[16:17], 3
	s_waitcnt lgkmcnt(0)
	s_add_u32 s24, s24, s14
	s_addc_u32 s25, s25, s15
	s_add_u32 s0, s0, s26
	s_addc_u32 s1, s1, s27
	;; [unrolled: 2-line block ×3, first 2 shown]
	s_load_dwordx2 s[16:17], s[14:15], 0x0
	s_load_dwordx2 s[26:27], s[0:1], 0x0
	s_bitcmp1_b32 s20, 0
	s_cselect_b64 s[0:1], -1, 0
	s_lshl_b64 s[14:15], s[30:31], 3
	s_waitcnt lgkmcnt(0)
	s_add_u32 s14, s16, s14
	s_addc_u32 s15, s17, s15
	s_lshl_b64 s[2:3], s[2:3], 3
	v_lshl_add_u32 v2, s6, 5, v0
	s_add_u32 s16, s26, s2
	v_ashrrev_i32_e32 v3, 31, v2
	s_addc_u32 s17, s27, s3
	v_cmp_gt_i32_e64 s[2:3], s21, v2
	v_lshlrev_b64 v[2:3], 3, v[2:3]
	s_load_dword s6, s[4:5], 0x84
	s_cmp_gt_i32 s22, 0
	v_mov_b32_e32 v4, s17
	v_add_co_u32_e32 v16, vcc, s16, v2
	v_addc_co_u32_e32 v17, vcc, v4, v3, vcc
	v_lshlrev_b32_e32 v18, 8, v0
	v_lshlrev_b32_e32 v4, 3, v1
	s_cselect_b64 s[4:5], -1, 0
	v_add_u32_e32 v19, v18, v4
	v_or_b32_e32 v20, 0x2000, v4
	v_mov_b32_e32 v4, s15
	v_add_co_u32_e32 v22, vcc, s14, v2
	v_cndmask_b32_e64 v2, 0, 1, s[4:5]
	v_add_u32_e32 v21, v20, v18
	v_addc_co_u32_e32 v23, vcc, v4, v3, vcc
	v_cmp_ne_u32_e64 s[4:5], 1, v2
	v_add_u32_e32 v24, 0x800, v20
	v_add_u32_e32 v25, 0x1000, v20
	;; [unrolled: 1-line block ×3, first 2 shown]
	s_branch .LBB46_4
.LBB46_3:                               ;   in Loop: Header=BB46_4 Depth=1
	s_waitcnt lgkmcnt(0)
	s_add_i32 s7, s7, s6
	s_cmp_gt_i32 s7, s23
	s_cbranch_scc1 .LBB46_13
.LBB46_4:                               ; =>This Loop Header: Depth=1
                                        ;     Child Loop BB46_7 Depth 2
	s_and_b64 vcc, exec, s[4:5]
	s_cbranch_vccnz .LBB46_3
; %bb.5:                                ;   in Loop: Header=BB46_4 Depth=1
	v_lshl_add_u32 v27, s7, 5, v1
	v_ashrrev_i32_e32 v2, 31, v27
	v_mul_lo_u32 v4, s12, v2
	v_mul_lo_u32 v5, s13, v27
	v_mad_u64_u32 v[2:3], s[14:15], s12, v27, 0
	v_cmp_gt_i32_e32 vcc, s22, v27
	s_and_b64 s[14:15], s[2:3], vcc
	v_add3_u32 v3, v3, v4, v5
	v_lshlrev_b64 v[2:3], 3, v[2:3]
	s_mov_b32 s20, 0
	v_add_co_u32_e32 v14, vcc, v22, v2
	v_addc_co_u32_e32 v15, vcc, v23, v3, vcc
	s_branch .LBB46_7
.LBB46_6:                               ;   in Loop: Header=BB46_7 Depth=2
	s_or_b64 exec, exec, s[16:17]
	s_add_i32 s20, s20, 32
	s_cmp_ge_i32 s20, s22
	s_waitcnt vmcnt(0) lgkmcnt(0)
	s_barrier
	s_cbranch_scc1 .LBB46_3
.LBB46_7:                               ;   Parent Loop BB46_4 Depth=1
                                        ; =>  This Inner Loop Header: Depth=2
	v_add_u32_e32 v5, s20, v1
	v_cmp_gt_i32_e32 vcc, s22, v5
	s_and_b64 s[26:27], s[2:3], vcc
	v_mov_b32_e32 v2, 0
	v_mov_b32_e32 v3, 0
	;; [unrolled: 1-line block ×3, first 2 shown]
	s_and_saveexec_b64 s[16:17], s[26:27]
	s_cbranch_execz .LBB46_9
; %bb.8:                                ;   in Loop: Header=BB46_7 Depth=2
	v_ashrrev_i32_e32 v6, 31, v5
	v_mul_lo_u32 v7, s9, v5
	v_mad_u64_u32 v[3:4], s[26:27], s8, v5, 0
	v_mul_lo_u32 v5, s8, v6
	v_add3_u32 v4, v4, v5, v7
	v_lshlrev_b64 v[3:4], 3, v[3:4]
	v_add_co_u32_e32 v3, vcc, v16, v3
	v_addc_co_u32_e32 v4, vcc, v17, v4, vcc
	flat_load_dwordx2 v[3:4], v[3:4]
.LBB46_9:                               ;   in Loop: Header=BB46_7 Depth=2
	s_or_b64 exec, exec, s[16:17]
	s_waitcnt vmcnt(0) lgkmcnt(0)
	ds_write_b64 v19, v[3:4]
	v_add_u32_e32 v3, s20, v0
	v_cndmask_b32_e64 v4, v27, v3, s[0:1]
	v_cndmask_b32_e64 v5, v3, v27, s[0:1]
	v_cmp_gt_i32_e32 vcc, v4, v5
	v_cndmask_b32_e32 v4, v3, v27, vcc
	v_cndmask_b32_e32 v5, v27, v3, vcc
	v_max_i32_e32 v3, v4, v5
	v_cmp_gt_i32_e32 vcc, s22, v3
	v_mov_b32_e32 v3, 0
	s_and_saveexec_b64 s[16:17], vcc
	s_cbranch_execz .LBB46_11
; %bb.10:                               ;   in Loop: Header=BB46_7 Depth=2
	v_ashrrev_i32_e32 v6, 31, v5
	v_mul_lo_u32 v7, s19, v5
	v_mad_u64_u32 v[2:3], s[26:27], s18, v5, 0
	v_mul_lo_u32 v5, s18, v6
	v_mov_b32_e32 v6, s25
	v_add3_u32 v3, v3, v5, v7
	v_lshlrev_b64 v[2:3], 3, v[2:3]
	v_ashrrev_i32_e32 v5, 31, v4
	v_add_co_u32_e32 v7, vcc, s24, v2
	v_addc_co_u32_e32 v6, vcc, v6, v3, vcc
	v_lshlrev_b64 v[2:3], 3, v[4:5]
	v_add_co_u32_e32 v2, vcc, v7, v2
	v_addc_co_u32_e32 v3, vcc, v6, v3, vcc
	flat_load_dwordx2 v[2:3], v[2:3]
.LBB46_11:                              ;   in Loop: Header=BB46_7 Depth=2
	s_or_b64 exec, exec, s[16:17]
	s_waitcnt vmcnt(0) lgkmcnt(0)
	ds_write_b64 v21, v[2:3]
	s_waitcnt lgkmcnt(0)
	s_barrier
	s_and_saveexec_b64 s[16:17], s[14:15]
	s_cbranch_execz .LBB46_6
; %bb.12:                               ;   in Loop: Header=BB46_7 Depth=2
	ds_read2_b64 v[2:5], v20 offset1:32
	ds_read_b128 v[6:9], v18
	ds_read_b128 v[10:13], v18 offset:16
	s_waitcnt lgkmcnt(1)
	v_mul_f32_e32 v28, v3, v7
	v_fma_f32 v33, v2, v6, -v28
	ds_read2_b64 v[28:31], v20 offset0:64 offset1:96
	v_mul_f32_e32 v32, v2, v7
	v_mul_f32_e32 v2, v5, v9
	v_fma_f32 v34, v4, v8, -v2
	v_fmac_f32_e32 v32, v3, v6
	s_waitcnt lgkmcnt(0)
	v_mul_f32_e32 v2, v29, v11
	v_mul_f32_e32 v35, v4, v9
	v_fma_f32 v36, v28, v10, -v2
	v_mul_f32_e32 v28, v28, v11
	v_mul_f32_e32 v2, v31, v13
	v_fmac_f32_e32 v35, v5, v8
	v_fmac_f32_e32 v28, v29, v10
	v_fma_f32 v29, v30, v12, -v2
	v_mul_f32_e32 v30, v30, v13
	v_add_f32_e32 v10, 0, v33
	v_add_f32_e32 v11, 0, v32
	v_fmac_f32_e32 v30, v31, v12
	ds_read_b128 v[2:5], v18 offset:32
	ds_read_b128 v[6:9], v18 offset:48
	v_add_f32_e32 v31, v10, v34
	v_add_f32_e32 v32, v11, v35
	ds_read2_b64 v[10:13], v20 offset0:128 offset1:160
	v_add_f32_e32 v28, v32, v28
	v_add_f32_e32 v31, v31, v36
	;; [unrolled: 1-line block ×4, first 2 shown]
	s_waitcnt lgkmcnt(0)
	v_mul_f32_e32 v30, v11, v3
	v_mul_f32_e32 v3, v10, v3
	v_fma_f32 v30, v10, v2, -v30
	v_fmac_f32_e32 v3, v11, v2
	v_add_f32_e32 v2, v29, v30
	v_add_f32_e32 v3, v28, v3
	ds_read2_b64 v[28:31], v20 offset0:192 offset1:224
	v_mul_f32_e32 v10, v13, v5
	v_mul_f32_e32 v5, v12, v5
	v_fma_f32 v10, v12, v4, -v10
	v_fmac_f32_e32 v5, v13, v4
	s_waitcnt lgkmcnt(0)
	v_mul_f32_e32 v4, v29, v7
	v_add_f32_e32 v2, v2, v10
	v_add_f32_e32 v3, v3, v5
	v_fma_f32 v4, v28, v6, -v4
	v_mul_f32_e32 v5, v28, v7
	v_fmac_f32_e32 v5, v29, v6
	v_add_f32_e32 v6, v2, v4
	v_mul_f32_e32 v2, v31, v9
	v_add_f32_e32 v7, v3, v5
	v_fma_f32 v13, v30, v8, -v2
	v_mul_f32_e32 v28, v30, v9
	ds_read_b128 v[2:5], v18 offset:64
	ds_read2_b64 v[9:12], v24 offset1:32
	v_fmac_f32_e32 v28, v31, v8
	v_add_f32_e32 v6, v6, v13
	v_add_f32_e32 v7, v7, v28
	ds_read_b128 v[28:31], v18 offset:80
	s_waitcnt lgkmcnt(1)
	v_mul_f32_e32 v8, v10, v3
	v_fma_f32 v8, v9, v2, -v8
	v_mul_f32_e32 v3, v9, v3
	v_fmac_f32_e32 v3, v10, v2
	v_add_f32_e32 v2, v6, v8
	v_mul_f32_e32 v6, v12, v5
	v_add_f32_e32 v3, v7, v3
	v_fma_f32 v10, v11, v4, -v6
	ds_read2_b64 v[6:9], v24 offset0:64 offset1:96
	v_mul_f32_e32 v5, v11, v5
	v_fmac_f32_e32 v5, v12, v4
	v_add_f32_e32 v2, v2, v10
	v_add_f32_e32 v3, v3, v5
	s_waitcnt lgkmcnt(0)
	v_mul_f32_e32 v4, v7, v29
	v_fma_f32 v4, v6, v28, -v4
	v_mul_f32_e32 v5, v6, v29
	v_fmac_f32_e32 v5, v7, v28
	v_add_f32_e32 v6, v2, v4
	v_mul_f32_e32 v2, v9, v31
	v_add_f32_e32 v7, v3, v5
	v_fma_f32 v28, v8, v30, -v2
	ds_read_b128 v[2:5], v18 offset:96
	ds_read2_b64 v[10:13], v24 offset0:128 offset1:160
	v_mul_f32_e32 v8, v8, v31
	v_fmac_f32_e32 v8, v9, v30
	v_add_f32_e32 v28, v6, v28
	v_add_f32_e32 v29, v7, v8
	s_waitcnt lgkmcnt(0)
	v_mul_f32_e32 v30, v11, v3
	v_mul_f32_e32 v3, v10, v3
	v_fma_f32 v30, v10, v2, -v30
	v_fmac_f32_e32 v3, v11, v2
	ds_read_b128 v[6:9], v18 offset:112
	v_add_f32_e32 v2, v28, v30
	v_add_f32_e32 v3, v29, v3
	ds_read2_b64 v[28:31], v24 offset0:192 offset1:224
	v_mul_f32_e32 v10, v13, v5
	v_mul_f32_e32 v5, v12, v5
	v_fma_f32 v10, v12, v4, -v10
	v_fmac_f32_e32 v5, v13, v4
	s_waitcnt lgkmcnt(0)
	v_mul_f32_e32 v4, v29, v7
	v_add_f32_e32 v2, v2, v10
	v_add_f32_e32 v3, v3, v5
	v_fma_f32 v4, v28, v6, -v4
	v_mul_f32_e32 v5, v28, v7
	v_fmac_f32_e32 v5, v29, v6
	v_add_f32_e32 v6, v2, v4
	v_mul_f32_e32 v2, v31, v9
	v_add_f32_e32 v7, v3, v5
	v_fma_f32 v13, v30, v8, -v2
	v_mul_f32_e32 v28, v30, v9
	ds_read_b128 v[2:5], v18 offset:128
	ds_read2_b64 v[9:12], v25 offset1:32
	v_fmac_f32_e32 v28, v31, v8
	v_add_f32_e32 v6, v6, v13
	v_add_f32_e32 v7, v7, v28
	ds_read_b128 v[28:31], v18 offset:144
	s_waitcnt lgkmcnt(1)
	v_mul_f32_e32 v8, v10, v3
	v_fma_f32 v8, v9, v2, -v8
	v_mul_f32_e32 v3, v9, v3
	ds_read2_b64 v[32:35], v25 offset0:64 offset1:96
	v_fmac_f32_e32 v3, v10, v2
	v_add_f32_e32 v2, v6, v8
	v_mul_f32_e32 v6, v12, v5
	v_fma_f32 v6, v11, v4, -v6
	v_mul_f32_e32 v5, v11, v5
	v_add_f32_e32 v3, v7, v3
	v_fmac_f32_e32 v5, v12, v4
	v_add_f32_e32 v2, v2, v6
	ds_read_b128 v[6:9], v18 offset:160
	ds_read2_b64 v[10:13], v25 offset0:128 offset1:160
	v_add_f32_e32 v3, v3, v5
	s_waitcnt lgkmcnt(2)
	v_mul_f32_e32 v4, v33, v29
	v_mul_f32_e32 v5, v32, v29
	v_fma_f32 v4, v32, v28, -v4
	v_fmac_f32_e32 v5, v33, v28
	v_add_f32_e32 v2, v2, v4
	v_add_f32_e32 v3, v3, v5
	v_mul_f32_e32 v4, v35, v31
	v_mul_f32_e32 v5, v34, v31
	v_fma_f32 v4, v34, v30, -v4
	v_fmac_f32_e32 v5, v35, v30
	s_waitcnt lgkmcnt(0)
	v_mul_f32_e32 v30, v11, v7
	v_mul_f32_e32 v31, v10, v7
	v_fma_f32 v30, v10, v6, -v30
	v_fmac_f32_e32 v31, v11, v6
	v_mul_f32_e32 v6, v13, v9
	v_fma_f32 v32, v12, v8, -v6
	flat_load_dwordx2 v[6:7], v[14:15]
	v_mul_f32_e32 v12, v12, v9
	v_add_f32_e32 v28, v2, v4
	v_add_f32_e32 v29, v3, v5
	ds_read_b128 v[2:5], v18 offset:176
	v_fmac_f32_e32 v12, v13, v8
	ds_read2_b64 v[8:11], v25 offset0:192 offset1:224
	v_add_f32_e32 v13, v28, v30
	v_add_f32_e32 v28, v29, v31
	;; [unrolled: 1-line block ×4, first 2 shown]
	s_waitcnt lgkmcnt(0)
	v_mul_f32_e32 v28, v9, v3
	v_mul_f32_e32 v29, v8, v3
	v_fma_f32 v28, v8, v2, -v28
	v_fmac_f32_e32 v29, v9, v2
	v_mul_f32_e32 v2, v11, v5
	v_mul_f32_e32 v30, v10, v5
	v_add_f32_e32 v13, v13, v28
	v_fma_f32 v28, v10, v4, -v2
	v_fmac_f32_e32 v30, v11, v4
	ds_read_b128 v[2:5], v18 offset:192
	ds_read2_b64 v[8:11], v26 offset1:32
	v_add_f32_e32 v12, v12, v29
	v_add_f32_e32 v13, v13, v28
	v_add_f32_e32 v12, v12, v30
	ds_read_b128 v[28:31], v18 offset:208
	s_waitcnt lgkmcnt(0)
	v_mul_f32_e32 v32, v9, v3
	v_fma_f32 v32, v8, v2, -v32
	v_mul_f32_e32 v8, v8, v3
	v_fmac_f32_e32 v8, v9, v2
	v_mul_f32_e32 v2, v11, v5
	v_fma_f32 v9, v10, v4, -v2
	v_mul_f32_e32 v10, v10, v5
	v_fmac_f32_e32 v10, v11, v4
	ds_read2_b64 v[2:5], v26 offset0:64 offset1:96
	v_add_f32_e32 v8, v12, v8
	v_add_f32_e32 v11, v13, v32
	;; [unrolled: 1-line block ×4, first 2 shown]
	s_waitcnt lgkmcnt(0)
	v_mul_f32_e32 v8, v3, v29
	v_fma_f32 v8, v2, v28, -v8
	v_mul_f32_e32 v13, v2, v29
	v_mul_f32_e32 v2, v5, v31
	;; [unrolled: 1-line block ×3, first 2 shown]
	v_fmac_f32_e32 v13, v3, v28
	v_add_f32_e32 v28, v9, v8
	v_fma_f32 v29, v4, v30, -v2
	v_fmac_f32_e32 v31, v5, v30
	ds_read_b128 v[2:5], v18 offset:224
	ds_read2_b64 v[8:11], v26 offset0:128 offset1:160
	v_add_f32_e32 v12, v12, v13
	v_add_f32_e32 v13, v28, v29
	;; [unrolled: 1-line block ×3, first 2 shown]
	ds_read_b128 v[28:31], v18 offset:240
	s_waitcnt lgkmcnt(0)
	v_mul_f32_e32 v32, v9, v3
	v_fma_f32 v32, v8, v2, -v32
	v_mul_f32_e32 v8, v8, v3
	v_fmac_f32_e32 v8, v9, v2
	v_mul_f32_e32 v2, v11, v5
	v_fma_f32 v9, v10, v4, -v2
	v_mul_f32_e32 v10, v10, v5
	v_fmac_f32_e32 v10, v11, v4
	ds_read2_b64 v[2:5], v26 offset0:192 offset1:224
	v_add_f32_e32 v8, v12, v8
	v_add_f32_e32 v8, v8, v10
	;; [unrolled: 1-line block ×4, first 2 shown]
	s_waitcnt lgkmcnt(0)
	v_mul_f32_e32 v10, v3, v29
	v_fma_f32 v10, v2, v28, -v10
	v_mul_f32_e32 v2, v2, v29
	v_fmac_f32_e32 v2, v3, v28
	v_add_f32_e32 v2, v8, v2
	v_mul_f32_e32 v8, v5, v31
	v_fma_f32 v8, v4, v30, -v8
	v_mul_f32_e32 v4, v4, v31
	v_fmac_f32_e32 v4, v5, v30
	v_add_f32_e32 v3, v9, v10
	v_add_f32_e32 v2, v2, v4
	;; [unrolled: 1-line block ×3, first 2 shown]
	v_mul_f32_e32 v4, s11, v2
	v_fma_f32 v4, s10, v3, -v4
	v_mul_f32_e32 v3, s11, v3
	v_fmac_f32_e32 v3, s10, v2
	s_waitcnt vmcnt(0)
	v_add_f32_e32 v2, v6, v4
	v_add_f32_e32 v3, v7, v3
	flat_store_dwordx2 v[14:15], v[2:3]
	s_branch .LBB46_6
.LBB46_13:
	s_endpgm
	.section	.rodata,"a",@progbits
	.p2align	6, 0x0
	.amdhsa_kernel _ZL24rocblas_symm_hemm_kernelILb0ELb1ELi32EPK19rocblas_complex_numIfEPKS3_PKPS1_EvbiiT2_T3_lllSA_lllT4_llli
		.amdhsa_group_segment_fixed_size 16384
		.amdhsa_private_segment_fixed_size 0
		.amdhsa_kernarg_size 384
		.amdhsa_user_sgpr_count 6
		.amdhsa_user_sgpr_private_segment_buffer 1
		.amdhsa_user_sgpr_dispatch_ptr 0
		.amdhsa_user_sgpr_queue_ptr 0
		.amdhsa_user_sgpr_kernarg_segment_ptr 1
		.amdhsa_user_sgpr_dispatch_id 0
		.amdhsa_user_sgpr_flat_scratch_init 0
		.amdhsa_user_sgpr_private_segment_size 0
		.amdhsa_uses_dynamic_stack 0
		.amdhsa_system_sgpr_private_segment_wavefront_offset 0
		.amdhsa_system_sgpr_workgroup_id_x 1
		.amdhsa_system_sgpr_workgroup_id_y 1
		.amdhsa_system_sgpr_workgroup_id_z 1
		.amdhsa_system_sgpr_workgroup_info 0
		.amdhsa_system_vgpr_workitem_id 1
		.amdhsa_next_free_vgpr 37
		.amdhsa_next_free_sgpr 61
		.amdhsa_reserve_vcc 1
		.amdhsa_reserve_flat_scratch 0
		.amdhsa_float_round_mode_32 0
		.amdhsa_float_round_mode_16_64 0
		.amdhsa_float_denorm_mode_32 3
		.amdhsa_float_denorm_mode_16_64 3
		.amdhsa_dx10_clamp 1
		.amdhsa_ieee_mode 1
		.amdhsa_fp16_overflow 0
		.amdhsa_exception_fp_ieee_invalid_op 0
		.amdhsa_exception_fp_denorm_src 0
		.amdhsa_exception_fp_ieee_div_zero 0
		.amdhsa_exception_fp_ieee_overflow 0
		.amdhsa_exception_fp_ieee_underflow 0
		.amdhsa_exception_fp_ieee_inexact 0
		.amdhsa_exception_int_div_zero 0
	.end_amdhsa_kernel
	.section	.text._ZL24rocblas_symm_hemm_kernelILb0ELb1ELi32EPK19rocblas_complex_numIfEPKS3_PKPS1_EvbiiT2_T3_lllSA_lllT4_llli,"axG",@progbits,_ZL24rocblas_symm_hemm_kernelILb0ELb1ELi32EPK19rocblas_complex_numIfEPKS3_PKPS1_EvbiiT2_T3_lllSA_lllT4_llli,comdat
.Lfunc_end46:
	.size	_ZL24rocblas_symm_hemm_kernelILb0ELb1ELi32EPK19rocblas_complex_numIfEPKS3_PKPS1_EvbiiT2_T3_lllSA_lllT4_llli, .Lfunc_end46-_ZL24rocblas_symm_hemm_kernelILb0ELb1ELi32EPK19rocblas_complex_numIfEPKS3_PKPS1_EvbiiT2_T3_lllSA_lllT4_llli
                                        ; -- End function
	.set _ZL24rocblas_symm_hemm_kernelILb0ELb1ELi32EPK19rocblas_complex_numIfEPKS3_PKPS1_EvbiiT2_T3_lllSA_lllT4_llli.num_vgpr, 37
	.set _ZL24rocblas_symm_hemm_kernelILb0ELb1ELi32EPK19rocblas_complex_numIfEPKS3_PKPS1_EvbiiT2_T3_lllSA_lllT4_llli.num_agpr, 0
	.set _ZL24rocblas_symm_hemm_kernelILb0ELb1ELi32EPK19rocblas_complex_numIfEPKS3_PKPS1_EvbiiT2_T3_lllSA_lllT4_llli.numbered_sgpr, 32
	.set _ZL24rocblas_symm_hemm_kernelILb0ELb1ELi32EPK19rocblas_complex_numIfEPKS3_PKPS1_EvbiiT2_T3_lllSA_lllT4_llli.num_named_barrier, 0
	.set _ZL24rocblas_symm_hemm_kernelILb0ELb1ELi32EPK19rocblas_complex_numIfEPKS3_PKPS1_EvbiiT2_T3_lllSA_lllT4_llli.private_seg_size, 0
	.set _ZL24rocblas_symm_hemm_kernelILb0ELb1ELi32EPK19rocblas_complex_numIfEPKS3_PKPS1_EvbiiT2_T3_lllSA_lllT4_llli.uses_vcc, 1
	.set _ZL24rocblas_symm_hemm_kernelILb0ELb1ELi32EPK19rocblas_complex_numIfEPKS3_PKPS1_EvbiiT2_T3_lllSA_lllT4_llli.uses_flat_scratch, 0
	.set _ZL24rocblas_symm_hemm_kernelILb0ELb1ELi32EPK19rocblas_complex_numIfEPKS3_PKPS1_EvbiiT2_T3_lllSA_lllT4_llli.has_dyn_sized_stack, 0
	.set _ZL24rocblas_symm_hemm_kernelILb0ELb1ELi32EPK19rocblas_complex_numIfEPKS3_PKPS1_EvbiiT2_T3_lllSA_lllT4_llli.has_recursion, 0
	.set _ZL24rocblas_symm_hemm_kernelILb0ELb1ELi32EPK19rocblas_complex_numIfEPKS3_PKPS1_EvbiiT2_T3_lllSA_lllT4_llli.has_indirect_call, 0
	.section	.AMDGPU.csdata,"",@progbits
; Kernel info:
; codeLenInByte = 2040
; TotalNumSgprs: 36
; NumVgprs: 37
; ScratchSize: 0
; MemoryBound: 0
; FloatMode: 240
; IeeeMode: 1
; LDSByteSize: 16384 bytes/workgroup (compile time only)
; SGPRBlocks: 8
; VGPRBlocks: 9
; NumSGPRsForWavesPerEU: 65
; NumVGPRsForWavesPerEU: 37
; Occupancy: 6
; WaveLimiterHint : 1
; COMPUTE_PGM_RSRC2:SCRATCH_EN: 0
; COMPUTE_PGM_RSRC2:USER_SGPR: 6
; COMPUTE_PGM_RSRC2:TRAP_HANDLER: 0
; COMPUTE_PGM_RSRC2:TGID_X_EN: 1
; COMPUTE_PGM_RSRC2:TGID_Y_EN: 1
; COMPUTE_PGM_RSRC2:TGID_Z_EN: 1
; COMPUTE_PGM_RSRC2:TIDIG_COMP_CNT: 1
	.section	.text._ZL25rocblas_symm_scale_kernelILi128ELi8E19rocblas_complex_numIfEPKPS1_EviiT1_T2_llli,"axG",@progbits,_ZL25rocblas_symm_scale_kernelILi128ELi8E19rocblas_complex_numIfEPKPS1_EviiT1_T2_llli,comdat
	.globl	_ZL25rocblas_symm_scale_kernelILi128ELi8E19rocblas_complex_numIfEPKPS1_EviiT1_T2_llli ; -- Begin function _ZL25rocblas_symm_scale_kernelILi128ELi8E19rocblas_complex_numIfEPKPS1_EviiT1_T2_llli
	.p2align	8
	.type	_ZL25rocblas_symm_scale_kernelILi128ELi8E19rocblas_complex_numIfEPKPS1_EviiT1_T2_llli,@function
_ZL25rocblas_symm_scale_kernelILi128ELi8E19rocblas_complex_numIfEPKPS1_EviiT1_T2_llli: ; @_ZL25rocblas_symm_scale_kernelILi128ELi8E19rocblas_complex_numIfEPKPS1_EviiT1_T2_llli
; %bb.0:
	s_load_dwordx4 s[0:3], s[4:5], 0x0
	s_waitcnt lgkmcnt(0)
	v_cmp_eq_f32_e64 s[10:11], s2, 1.0
	v_cmp_eq_f32_e64 s[12:13], s3, 0
	s_and_b64 s[10:11], s[10:11], s[12:13]
	s_and_b64 vcc, exec, s[10:11]
	s_cbranch_vccnz .LBB47_6
; %bb.1:
	v_lshl_add_u32 v2, s6, 7, v0
	v_lshl_add_u32 v0, s7, 3, v1
	v_mov_b32_e32 v1, 0
	s_ashr_i32 s7, s1, 31
	s_mov_b32 s6, s1
	v_cmp_gt_i64_e32 vcc, s[6:7], v[0:1]
	v_cmp_gt_u32_e64 s[0:1], s0, v2
	s_and_b64 s[0:1], s[0:1], vcc
	s_and_saveexec_b64 s[10:11], s[0:1]
	s_cbranch_execz .LBB47_6
; %bb.2:
	s_load_dwordx4 s[12:15], s[4:5], 0x10
	s_load_dwordx2 s[0:1], s[4:5], 0x20
	s_mov_b32 s9, 0
	s_lshl_b64 s[8:9], s[8:9], 3
	s_waitcnt lgkmcnt(0)
	s_add_u32 s8, s12, s8
	v_mad_u64_u32 v[4:5], s[10:11], s0, v0, 0
	s_load_dword s10, s[4:5], 0x3c
	s_addc_u32 s9, s13, s9
	v_mov_b32_e32 v3, v5
	v_mad_u64_u32 v[5:6], s[4:5], s1, v0, v[3:4]
	s_or_b32 s12, s2, s3
	s_bitset0_b32 s12, 31
	s_cmp_lg_u32 s12, 0
	v_lshlrev_b64 v[4:5], 3, v[4:5]
	s_load_dwordx2 s[8:9], s[8:9], 0x0
	s_cselect_b64 s[12:13], -1, 0
	v_mov_b32_e32 v3, v1
	s_lshl_b64 s[4:5], s[14:15], 3
	v_mov_b32_e32 v6, s5
	v_add_co_u32_e32 v4, vcc, s4, v4
	v_lshlrev_b64 v[2:3], 3, v[2:3]
	v_addc_co_u32_e32 v5, vcc, v5, v6, vcc
	s_waitcnt lgkmcnt(0)
	s_lshl_b32 s10, s10, 3
	v_add_co_u32_e32 v2, vcc, v4, v2
	v_addc_co_u32_e32 v3, vcc, v5, v3, vcc
	s_mul_i32 s1, s1, s10
	s_mul_hi_u32 s4, s0, s10
	v_mov_b32_e32 v4, s9
	v_add_co_u32_e32 v2, vcc, s8, v2
	s_add_i32 s1, s4, s1
	s_mul_i32 s0, s0, s10
	v_addc_co_u32_e32 v3, vcc, v4, v3, vcc
	s_lshl_b64 s[4:5], s[0:1], 3
	v_cndmask_b32_e64 v4, 0, 1, s[12:13]
	s_mov_b64 s[8:9], 0
	v_cmp_ne_u32_e64 s[0:1], 1, v4
	v_mov_b32_e32 v6, s5
	s_branch .LBB47_4
.LBB47_3:                               ;   in Loop: Header=BB47_4 Depth=1
	v_add_co_u32_e32 v0, vcc, s10, v0
	v_addc_co_u32_e32 v1, vcc, 0, v1, vcc
	v_cmp_le_i64_e32 vcc, s[6:7], v[0:1]
	flat_store_dwordx2 v[2:3], v[4:5]
	s_or_b64 s[8:9], vcc, s[8:9]
	v_add_co_u32_e32 v2, vcc, s4, v2
	v_addc_co_u32_e32 v3, vcc, v3, v6, vcc
	s_andn2_b64 exec, exec, s[8:9]
	s_cbranch_execz .LBB47_6
.LBB47_4:                               ; =>This Inner Loop Header: Depth=1
	v_mov_b32_e32 v5, 0
	s_and_b64 vcc, exec, s[0:1]
	v_mov_b32_e32 v4, 0
	s_cbranch_vccnz .LBB47_3
; %bb.5:                                ;   in Loop: Header=BB47_4 Depth=1
	flat_load_dwordx2 v[7:8], v[2:3]
	s_waitcnt vmcnt(0) lgkmcnt(0)
	v_mul_f32_e32 v4, s3, v8
	v_mul_f32_e32 v5, s2, v8
	v_fma_f32 v4, v7, s2, -v4
	v_fmac_f32_e32 v5, s3, v7
	s_branch .LBB47_3
.LBB47_6:
	s_endpgm
	.section	.rodata,"a",@progbits
	.p2align	6, 0x0
	.amdhsa_kernel _ZL25rocblas_symm_scale_kernelILi128ELi8E19rocblas_complex_numIfEPKPS1_EviiT1_T2_llli
		.amdhsa_group_segment_fixed_size 0
		.amdhsa_private_segment_fixed_size 0
		.amdhsa_kernarg_size 312
		.amdhsa_user_sgpr_count 6
		.amdhsa_user_sgpr_private_segment_buffer 1
		.amdhsa_user_sgpr_dispatch_ptr 0
		.amdhsa_user_sgpr_queue_ptr 0
		.amdhsa_user_sgpr_kernarg_segment_ptr 1
		.amdhsa_user_sgpr_dispatch_id 0
		.amdhsa_user_sgpr_flat_scratch_init 0
		.amdhsa_user_sgpr_private_segment_size 0
		.amdhsa_uses_dynamic_stack 0
		.amdhsa_system_sgpr_private_segment_wavefront_offset 0
		.amdhsa_system_sgpr_workgroup_id_x 1
		.amdhsa_system_sgpr_workgroup_id_y 1
		.amdhsa_system_sgpr_workgroup_id_z 1
		.amdhsa_system_sgpr_workgroup_info 0
		.amdhsa_system_vgpr_workitem_id 1
		.amdhsa_next_free_vgpr 9
		.amdhsa_next_free_sgpr 16
		.amdhsa_reserve_vcc 1
		.amdhsa_reserve_flat_scratch 0
		.amdhsa_float_round_mode_32 0
		.amdhsa_float_round_mode_16_64 0
		.amdhsa_float_denorm_mode_32 3
		.amdhsa_float_denorm_mode_16_64 3
		.amdhsa_dx10_clamp 1
		.amdhsa_ieee_mode 1
		.amdhsa_fp16_overflow 0
		.amdhsa_exception_fp_ieee_invalid_op 0
		.amdhsa_exception_fp_denorm_src 0
		.amdhsa_exception_fp_ieee_div_zero 0
		.amdhsa_exception_fp_ieee_overflow 0
		.amdhsa_exception_fp_ieee_underflow 0
		.amdhsa_exception_fp_ieee_inexact 0
		.amdhsa_exception_int_div_zero 0
	.end_amdhsa_kernel
	.section	.text._ZL25rocblas_symm_scale_kernelILi128ELi8E19rocblas_complex_numIfEPKPS1_EviiT1_T2_llli,"axG",@progbits,_ZL25rocblas_symm_scale_kernelILi128ELi8E19rocblas_complex_numIfEPKPS1_EviiT1_T2_llli,comdat
.Lfunc_end47:
	.size	_ZL25rocblas_symm_scale_kernelILi128ELi8E19rocblas_complex_numIfEPKPS1_EviiT1_T2_llli, .Lfunc_end47-_ZL25rocblas_symm_scale_kernelILi128ELi8E19rocblas_complex_numIfEPKPS1_EviiT1_T2_llli
                                        ; -- End function
	.set _ZL25rocblas_symm_scale_kernelILi128ELi8E19rocblas_complex_numIfEPKPS1_EviiT1_T2_llli.num_vgpr, 9
	.set _ZL25rocblas_symm_scale_kernelILi128ELi8E19rocblas_complex_numIfEPKPS1_EviiT1_T2_llli.num_agpr, 0
	.set _ZL25rocblas_symm_scale_kernelILi128ELi8E19rocblas_complex_numIfEPKPS1_EviiT1_T2_llli.numbered_sgpr, 16
	.set _ZL25rocblas_symm_scale_kernelILi128ELi8E19rocblas_complex_numIfEPKPS1_EviiT1_T2_llli.num_named_barrier, 0
	.set _ZL25rocblas_symm_scale_kernelILi128ELi8E19rocblas_complex_numIfEPKPS1_EviiT1_T2_llli.private_seg_size, 0
	.set _ZL25rocblas_symm_scale_kernelILi128ELi8E19rocblas_complex_numIfEPKPS1_EviiT1_T2_llli.uses_vcc, 1
	.set _ZL25rocblas_symm_scale_kernelILi128ELi8E19rocblas_complex_numIfEPKPS1_EviiT1_T2_llli.uses_flat_scratch, 0
	.set _ZL25rocblas_symm_scale_kernelILi128ELi8E19rocblas_complex_numIfEPKPS1_EviiT1_T2_llli.has_dyn_sized_stack, 0
	.set _ZL25rocblas_symm_scale_kernelILi128ELi8E19rocblas_complex_numIfEPKPS1_EviiT1_T2_llli.has_recursion, 0
	.set _ZL25rocblas_symm_scale_kernelILi128ELi8E19rocblas_complex_numIfEPKPS1_EviiT1_T2_llli.has_indirect_call, 0
	.section	.AMDGPU.csdata,"",@progbits
; Kernel info:
; codeLenInByte = 388
; TotalNumSgprs: 20
; NumVgprs: 9
; ScratchSize: 0
; MemoryBound: 0
; FloatMode: 240
; IeeeMode: 1
; LDSByteSize: 0 bytes/workgroup (compile time only)
; SGPRBlocks: 2
; VGPRBlocks: 2
; NumSGPRsForWavesPerEU: 20
; NumVGPRsForWavesPerEU: 9
; Occupancy: 10
; WaveLimiterHint : 0
; COMPUTE_PGM_RSRC2:SCRATCH_EN: 0
; COMPUTE_PGM_RSRC2:USER_SGPR: 6
; COMPUTE_PGM_RSRC2:TRAP_HANDLER: 0
; COMPUTE_PGM_RSRC2:TGID_X_EN: 1
; COMPUTE_PGM_RSRC2:TGID_Y_EN: 1
; COMPUTE_PGM_RSRC2:TGID_Z_EN: 1
; COMPUTE_PGM_RSRC2:TIDIG_COMP_CNT: 1
	.section	.text._ZL24rocblas_symm_hemm_kernelILb0ELb0ELi32E19rocblas_complex_numIfEPKPKS1_PKPS1_EvbiiT2_T3_lllSA_lllT4_llli,"axG",@progbits,_ZL24rocblas_symm_hemm_kernelILb0ELb0ELi32E19rocblas_complex_numIfEPKPKS1_PKPS1_EvbiiT2_T3_lllSA_lllT4_llli,comdat
	.globl	_ZL24rocblas_symm_hemm_kernelILb0ELb0ELi32E19rocblas_complex_numIfEPKPKS1_PKPS1_EvbiiT2_T3_lllSA_lllT4_llli ; -- Begin function _ZL24rocblas_symm_hemm_kernelILb0ELb0ELi32E19rocblas_complex_numIfEPKPKS1_PKPS1_EvbiiT2_T3_lllSA_lllT4_llli
	.p2align	8
	.type	_ZL24rocblas_symm_hemm_kernelILb0ELb0ELi32E19rocblas_complex_numIfEPKPKS1_PKPS1_EvbiiT2_T3_lllSA_lllT4_llli,@function
_ZL24rocblas_symm_hemm_kernelILb0ELb0ELi32E19rocblas_complex_numIfEPKPKS1_PKPS1_EvbiiT2_T3_lllSA_lllT4_llli: ; @_ZL24rocblas_symm_hemm_kernelILb0ELb0ELi32E19rocblas_complex_numIfEPKPKS1_PKPS1_EvbiiT2_T3_lllSA_lllT4_llli
; %bb.0:
	s_load_dwordx4 s[12:15], s[4:5], 0x0
	s_load_dword s24, s[4:5], 0x10
	s_waitcnt lgkmcnt(0)
	v_cmp_eq_f32_e64 s[0:1], s15, 0
	v_cmp_eq_f32_e64 s[2:3], s24, 0
	s_and_b64 s[0:1], s[0:1], s[2:3]
	s_and_b64 vcc, exec, s[0:1]
	s_cbranch_vccnz .LBB48_13
; %bb.1:
	s_add_i32 s0, s14, -1
	s_ashr_i32 s1, s0, 31
	s_lshr_b32 s1, s1, 27
	s_add_i32 s0, s0, s1
	s_ashr_i32 s25, s0, 5
	s_cmp_gt_i32 s7, s25
	s_cbranch_scc1 .LBB48_13
; %bb.2:
	s_load_dwordx4 s[0:3], s[4:5], 0x18
	s_load_dwordx2 s[10:11], s[4:5], 0x28
	s_mov_b32 s9, 0
	s_lshl_b64 s[8:9], s[8:9], 3
	v_lshl_add_u32 v14, s6, 5, v0
	s_waitcnt lgkmcnt(0)
	s_add_u32 s0, s0, s8
	s_addc_u32 s1, s1, s9
	s_load_dwordx2 s[26:27], s[0:1], 0x0
	s_load_dwordx4 s[20:23], s[4:5], 0x38
	s_load_dwordx2 s[16:17], s[4:5], 0x48
	s_load_dwordx2 s[18:19], s[4:5], 0x68
	s_load_dwordx4 s[36:39], s[4:5], 0x58
	s_lshl_b64 s[0:1], s[2:3], 3
	s_waitcnt lgkmcnt(0)
	s_add_u32 s26, s26, s0
	s_addc_u32 s27, s27, s1
	s_add_u32 s0, s20, s8
	s_addc_u32 s1, s21, s9
	s_load_dwordx2 s[0:1], s[0:1], 0x0
	s_lshl_b64 s[2:3], s[22:23], 3
	v_lshlrev_b32_e32 v17, 8, v0
	v_lshlrev_b32_e32 v2, 3, v1
	v_ashrrev_i32_e32 v15, 31, v14
	s_waitcnt lgkmcnt(0)
	s_add_u32 s6, s0, s2
	s_addc_u32 s28, s1, s3
	s_add_u32 s0, s36, s8
	s_addc_u32 s1, s37, s9
	s_load_dwordx2 s[2:3], s[0:1], 0x0
	s_bitcmp1_b32 s12, 0
	s_cselect_b64 s[0:1], -1, 0
	s_lshl_b64 s[8:9], s[38:39], 3
	s_load_dword s12, s[4:5], 0x84
	s_waitcnt lgkmcnt(0)
	s_add_u32 s8, s2, s8
	s_addc_u32 s9, s3, s9
	v_add_u32_e32 v18, v17, v2
	s_cmp_gt_i32 s13, 0
	v_or_b32_e32 v19, 0x2000, v2
	v_lshlrev_b64 v[2:3], 3, v[14:15]
	s_cselect_b64 s[4:5], -1, 0
	v_mov_b32_e32 v4, s9
	v_add_co_u32_e32 v21, vcc, s8, v2
	v_cndmask_b32_e64 v2, 0, 1, s[4:5]
	v_add_u32_e32 v20, v19, v17
	v_cmp_gt_i32_e64 s[2:3], s13, v14
	v_addc_co_u32_e32 v22, vcc, v4, v3, vcc
	v_cmp_ne_u32_e64 s[4:5], 1, v2
	v_add_u32_e32 v23, 0x800, v19
	v_add_u32_e32 v24, 0x1000, v19
	;; [unrolled: 1-line block ×3, first 2 shown]
	s_branch .LBB48_4
.LBB48_3:                               ;   in Loop: Header=BB48_4 Depth=1
	s_add_i32 s7, s7, s12
	s_cmp_gt_i32 s7, s25
	s_cbranch_scc1 .LBB48_13
.LBB48_4:                               ; =>This Loop Header: Depth=1
                                        ;     Child Loop BB48_7 Depth 2
	s_and_b64 vcc, exec, s[4:5]
	s_cbranch_vccnz .LBB48_3
; %bb.5:                                ;   in Loop: Header=BB48_4 Depth=1
	v_lshl_add_u32 v4, s7, 5, v1
	v_ashrrev_i32_e32 v5, 31, v4
	v_mul_lo_u32 v6, s16, v5
	v_mul_lo_u32 v7, s17, v4
	v_mad_u64_u32 v[2:3], s[8:9], s16, v4, 0
	v_cmp_gt_i32_e32 vcc, s14, v4
	v_mul_lo_u32 v8, s19, v4
	v_add3_u32 v3, v3, v6, v7
	v_mul_lo_u32 v7, s18, v5
	v_mad_u64_u32 v[4:5], s[8:9], s18, v4, 0
	v_lshlrev_b64 v[2:3], 3, v[2:3]
	v_mov_b32_e32 v6, s28
	v_add_co_u32_e64 v26, s[8:9], s6, v2
	v_add3_u32 v5, v5, v7, v8
	v_addc_co_u32_e64 v27, s[8:9], v6, v3, s[8:9]
	v_lshlrev_b64 v[2:3], 3, v[4:5]
	s_and_b64 s[20:21], s[2:3], vcc
	v_add_co_u32_e64 v15, s[8:9], v21, v2
	v_addc_co_u32_e64 v16, s[8:9], v22, v3, s[8:9]
	s_mov_b32 s29, 0
	s_branch .LBB48_7
.LBB48_6:                               ;   in Loop: Header=BB48_7 Depth=2
	s_or_b64 exec, exec, s[8:9]
	s_add_i32 s29, s29, 32
	s_cmp_ge_i32 s29, s13
	s_waitcnt vmcnt(0) lgkmcnt(0)
	s_barrier
	s_cbranch_scc1 .LBB48_3
.LBB48_7:                               ;   Parent Loop BB48_4 Depth=1
                                        ; =>  This Inner Loop Header: Depth=2
	v_add_u32_e32 v2, s29, v1
	v_cndmask_b32_e64 v3, v2, v14, s[0:1]
	v_cndmask_b32_e64 v4, v14, v2, s[0:1]
	v_cmp_gt_i32_e64 s[8:9], v3, v4
	v_cndmask_b32_e64 v3, v14, v2, s[8:9]
	v_cndmask_b32_e64 v6, v2, v14, s[8:9]
	v_max_i32_e32 v2, v3, v6
	v_cmp_gt_i32_e64 s[8:9], s13, v2
	v_mov_b32_e32 v2, 0
	v_mov_b32_e32 v4, 0
	;; [unrolled: 1-line block ×3, first 2 shown]
	s_and_saveexec_b64 s[22:23], s[8:9]
	s_cbranch_execz .LBB48_9
; %bb.8:                                ;   in Loop: Header=BB48_7 Depth=2
	v_ashrrev_i32_e32 v4, 31, v6
	v_mul_lo_u32 v7, s11, v6
	v_mad_u64_u32 v[5:6], s[8:9], s10, v6, 0
	v_mul_lo_u32 v4, s10, v4
	v_add3_u32 v6, v6, v4, v7
	v_lshlrev_b64 v[5:6], 3, v[5:6]
	v_ashrrev_i32_e32 v4, 31, v3
	v_mov_b32_e32 v7, s27
	v_add_co_u32_e64 v5, s[8:9], s26, v5
	v_lshlrev_b64 v[3:4], 3, v[3:4]
	v_addc_co_u32_e64 v6, s[8:9], v7, v6, s[8:9]
	v_add_co_u32_e64 v3, s[8:9], v5, v3
	v_addc_co_u32_e64 v4, s[8:9], v6, v4, s[8:9]
	flat_load_dwordx2 v[4:5], v[3:4]
.LBB48_9:                               ;   in Loop: Header=BB48_7 Depth=2
	s_or_b64 exec, exec, s[22:23]
	s_waitcnt vmcnt(0) lgkmcnt(0)
	ds_write_b64 v18, v[4:5]
	v_add_u32_e32 v4, s29, v0
	v_cmp_gt_i32_e64 s[8:9], s13, v4
	s_and_b64 s[8:9], s[8:9], vcc
	v_mov_b32_e32 v3, 0
	s_and_saveexec_b64 s[22:23], s[8:9]
	s_cbranch_execz .LBB48_11
; %bb.10:                               ;   in Loop: Header=BB48_7 Depth=2
	v_ashrrev_i32_e32 v5, 31, v4
	v_lshlrev_b64 v[2:3], 3, v[4:5]
	v_add_co_u32_e64 v2, s[8:9], v26, v2
	v_addc_co_u32_e64 v3, s[8:9], v27, v3, s[8:9]
	flat_load_dwordx2 v[2:3], v[2:3]
.LBB48_11:                              ;   in Loop: Header=BB48_7 Depth=2
	s_or_b64 exec, exec, s[22:23]
	s_waitcnt vmcnt(0) lgkmcnt(0)
	ds_write_b64 v20, v[2:3]
	s_waitcnt lgkmcnt(0)
	s_barrier
	s_and_saveexec_b64 s[8:9], s[20:21]
	s_cbranch_execz .LBB48_6
; %bb.12:                               ;   in Loop: Header=BB48_7 Depth=2
	ds_read2_b64 v[2:5], v19 offset1:32
	ds_read_b128 v[6:9], v17
	ds_read_b128 v[10:13], v17 offset:16
	s_waitcnt lgkmcnt(1)
	v_mul_f32_e32 v28, v3, v7
	v_fma_f32 v33, v2, v6, -v28
	ds_read2_b64 v[28:31], v19 offset0:64 offset1:96
	v_mul_f32_e32 v32, v2, v7
	v_mul_f32_e32 v2, v5, v9
	v_fma_f32 v34, v4, v8, -v2
	v_fmac_f32_e32 v32, v3, v6
	s_waitcnt lgkmcnt(0)
	v_mul_f32_e32 v2, v29, v11
	v_mul_f32_e32 v35, v4, v9
	v_fma_f32 v36, v28, v10, -v2
	v_mul_f32_e32 v28, v28, v11
	v_mul_f32_e32 v2, v31, v13
	v_fmac_f32_e32 v35, v5, v8
	v_fmac_f32_e32 v28, v29, v10
	v_fma_f32 v29, v30, v12, -v2
	v_mul_f32_e32 v30, v30, v13
	v_add_f32_e32 v10, 0, v33
	v_add_f32_e32 v11, 0, v32
	v_fmac_f32_e32 v30, v31, v12
	ds_read_b128 v[2:5], v17 offset:32
	ds_read_b128 v[6:9], v17 offset:48
	v_add_f32_e32 v31, v10, v34
	v_add_f32_e32 v32, v11, v35
	ds_read2_b64 v[10:13], v19 offset0:128 offset1:160
	v_add_f32_e32 v28, v32, v28
	v_add_f32_e32 v31, v31, v36
	;; [unrolled: 1-line block ×4, first 2 shown]
	s_waitcnt lgkmcnt(0)
	v_mul_f32_e32 v30, v11, v3
	v_mul_f32_e32 v3, v10, v3
	v_fma_f32 v30, v10, v2, -v30
	v_fmac_f32_e32 v3, v11, v2
	v_add_f32_e32 v2, v29, v30
	v_add_f32_e32 v3, v28, v3
	ds_read2_b64 v[28:31], v19 offset0:192 offset1:224
	v_mul_f32_e32 v10, v13, v5
	v_mul_f32_e32 v5, v12, v5
	v_fma_f32 v10, v12, v4, -v10
	v_fmac_f32_e32 v5, v13, v4
	s_waitcnt lgkmcnt(0)
	v_mul_f32_e32 v4, v29, v7
	v_add_f32_e32 v2, v2, v10
	v_add_f32_e32 v3, v3, v5
	v_fma_f32 v4, v28, v6, -v4
	v_mul_f32_e32 v5, v28, v7
	v_fmac_f32_e32 v5, v29, v6
	v_add_f32_e32 v6, v2, v4
	v_mul_f32_e32 v2, v31, v9
	v_add_f32_e32 v7, v3, v5
	v_fma_f32 v13, v30, v8, -v2
	v_mul_f32_e32 v28, v30, v9
	ds_read_b128 v[2:5], v17 offset:64
	ds_read2_b64 v[9:12], v23 offset1:32
	v_fmac_f32_e32 v28, v31, v8
	v_add_f32_e32 v6, v6, v13
	v_add_f32_e32 v7, v7, v28
	ds_read_b128 v[28:31], v17 offset:80
	s_waitcnt lgkmcnt(1)
	v_mul_f32_e32 v8, v10, v3
	v_fma_f32 v8, v9, v2, -v8
	v_mul_f32_e32 v3, v9, v3
	v_fmac_f32_e32 v3, v10, v2
	v_add_f32_e32 v2, v6, v8
	v_mul_f32_e32 v6, v12, v5
	v_add_f32_e32 v3, v7, v3
	v_fma_f32 v10, v11, v4, -v6
	ds_read2_b64 v[6:9], v23 offset0:64 offset1:96
	v_mul_f32_e32 v5, v11, v5
	v_fmac_f32_e32 v5, v12, v4
	v_add_f32_e32 v2, v2, v10
	v_add_f32_e32 v3, v3, v5
	s_waitcnt lgkmcnt(0)
	v_mul_f32_e32 v4, v7, v29
	v_fma_f32 v4, v6, v28, -v4
	v_mul_f32_e32 v5, v6, v29
	v_fmac_f32_e32 v5, v7, v28
	v_add_f32_e32 v6, v2, v4
	v_mul_f32_e32 v2, v9, v31
	v_add_f32_e32 v7, v3, v5
	v_fma_f32 v28, v8, v30, -v2
	ds_read_b128 v[2:5], v17 offset:96
	ds_read2_b64 v[10:13], v23 offset0:128 offset1:160
	v_mul_f32_e32 v8, v8, v31
	v_fmac_f32_e32 v8, v9, v30
	v_add_f32_e32 v28, v6, v28
	v_add_f32_e32 v29, v7, v8
	s_waitcnt lgkmcnt(0)
	v_mul_f32_e32 v30, v11, v3
	v_mul_f32_e32 v3, v10, v3
	v_fma_f32 v30, v10, v2, -v30
	v_fmac_f32_e32 v3, v11, v2
	ds_read_b128 v[6:9], v17 offset:112
	v_add_f32_e32 v2, v28, v30
	v_add_f32_e32 v3, v29, v3
	ds_read2_b64 v[28:31], v23 offset0:192 offset1:224
	v_mul_f32_e32 v10, v13, v5
	v_mul_f32_e32 v5, v12, v5
	v_fma_f32 v10, v12, v4, -v10
	v_fmac_f32_e32 v5, v13, v4
	s_waitcnt lgkmcnt(0)
	v_mul_f32_e32 v4, v29, v7
	v_add_f32_e32 v2, v2, v10
	v_add_f32_e32 v3, v3, v5
	v_fma_f32 v4, v28, v6, -v4
	v_mul_f32_e32 v5, v28, v7
	v_fmac_f32_e32 v5, v29, v6
	v_add_f32_e32 v6, v2, v4
	v_mul_f32_e32 v2, v31, v9
	v_add_f32_e32 v7, v3, v5
	v_fma_f32 v13, v30, v8, -v2
	v_mul_f32_e32 v28, v30, v9
	ds_read_b128 v[2:5], v17 offset:128
	ds_read2_b64 v[9:12], v24 offset1:32
	v_fmac_f32_e32 v28, v31, v8
	v_add_f32_e32 v6, v6, v13
	v_add_f32_e32 v7, v7, v28
	ds_read_b128 v[28:31], v17 offset:144
	s_waitcnt lgkmcnt(1)
	v_mul_f32_e32 v8, v10, v3
	v_fma_f32 v8, v9, v2, -v8
	v_mul_f32_e32 v3, v9, v3
	ds_read2_b64 v[32:35], v24 offset0:64 offset1:96
	v_fmac_f32_e32 v3, v10, v2
	v_add_f32_e32 v2, v6, v8
	v_mul_f32_e32 v6, v12, v5
	v_fma_f32 v6, v11, v4, -v6
	v_mul_f32_e32 v5, v11, v5
	v_add_f32_e32 v3, v7, v3
	v_fmac_f32_e32 v5, v12, v4
	v_add_f32_e32 v2, v2, v6
	ds_read_b128 v[6:9], v17 offset:160
	ds_read2_b64 v[10:13], v24 offset0:128 offset1:160
	v_add_f32_e32 v3, v3, v5
	s_waitcnt lgkmcnt(2)
	v_mul_f32_e32 v4, v33, v29
	v_mul_f32_e32 v5, v32, v29
	v_fma_f32 v4, v32, v28, -v4
	v_fmac_f32_e32 v5, v33, v28
	v_add_f32_e32 v2, v2, v4
	v_add_f32_e32 v3, v3, v5
	v_mul_f32_e32 v4, v35, v31
	v_mul_f32_e32 v5, v34, v31
	v_fma_f32 v4, v34, v30, -v4
	v_fmac_f32_e32 v5, v35, v30
	s_waitcnt lgkmcnt(0)
	v_mul_f32_e32 v30, v11, v7
	v_mul_f32_e32 v31, v10, v7
	v_fma_f32 v30, v10, v6, -v30
	v_fmac_f32_e32 v31, v11, v6
	v_mul_f32_e32 v6, v13, v9
	v_fma_f32 v32, v12, v8, -v6
	flat_load_dwordx2 v[6:7], v[15:16]
	v_mul_f32_e32 v12, v12, v9
	v_add_f32_e32 v28, v2, v4
	v_add_f32_e32 v29, v3, v5
	ds_read_b128 v[2:5], v17 offset:176
	v_fmac_f32_e32 v12, v13, v8
	ds_read2_b64 v[8:11], v24 offset0:192 offset1:224
	v_add_f32_e32 v13, v28, v30
	v_add_f32_e32 v28, v29, v31
	;; [unrolled: 1-line block ×4, first 2 shown]
	s_waitcnt lgkmcnt(0)
	v_mul_f32_e32 v28, v9, v3
	v_mul_f32_e32 v29, v8, v3
	v_fma_f32 v28, v8, v2, -v28
	v_fmac_f32_e32 v29, v9, v2
	v_mul_f32_e32 v2, v11, v5
	v_mul_f32_e32 v30, v10, v5
	v_add_f32_e32 v13, v13, v28
	v_fma_f32 v28, v10, v4, -v2
	v_fmac_f32_e32 v30, v11, v4
	ds_read_b128 v[2:5], v17 offset:192
	ds_read2_b64 v[8:11], v25 offset1:32
	v_add_f32_e32 v12, v12, v29
	v_add_f32_e32 v13, v13, v28
	;; [unrolled: 1-line block ×3, first 2 shown]
	ds_read_b128 v[28:31], v17 offset:208
	s_waitcnt lgkmcnt(0)
	v_mul_f32_e32 v32, v9, v3
	v_fma_f32 v32, v8, v2, -v32
	v_mul_f32_e32 v8, v8, v3
	v_fmac_f32_e32 v8, v9, v2
	v_mul_f32_e32 v2, v11, v5
	v_fma_f32 v9, v10, v4, -v2
	v_mul_f32_e32 v10, v10, v5
	v_fmac_f32_e32 v10, v11, v4
	ds_read2_b64 v[2:5], v25 offset0:64 offset1:96
	v_add_f32_e32 v8, v12, v8
	v_add_f32_e32 v11, v13, v32
	;; [unrolled: 1-line block ×4, first 2 shown]
	s_waitcnt lgkmcnt(0)
	v_mul_f32_e32 v8, v3, v29
	v_fma_f32 v8, v2, v28, -v8
	v_mul_f32_e32 v13, v2, v29
	v_mul_f32_e32 v2, v5, v31
	;; [unrolled: 1-line block ×3, first 2 shown]
	v_fmac_f32_e32 v13, v3, v28
	v_add_f32_e32 v28, v9, v8
	v_fma_f32 v29, v4, v30, -v2
	v_fmac_f32_e32 v31, v5, v30
	ds_read_b128 v[2:5], v17 offset:224
	ds_read2_b64 v[8:11], v25 offset0:128 offset1:160
	v_add_f32_e32 v12, v12, v13
	v_add_f32_e32 v13, v28, v29
	;; [unrolled: 1-line block ×3, first 2 shown]
	ds_read_b128 v[28:31], v17 offset:240
	s_waitcnt lgkmcnt(0)
	v_mul_f32_e32 v32, v9, v3
	v_fma_f32 v32, v8, v2, -v32
	v_mul_f32_e32 v8, v8, v3
	v_fmac_f32_e32 v8, v9, v2
	v_mul_f32_e32 v2, v11, v5
	v_fma_f32 v9, v10, v4, -v2
	v_mul_f32_e32 v10, v10, v5
	v_fmac_f32_e32 v10, v11, v4
	ds_read2_b64 v[2:5], v25 offset0:192 offset1:224
	v_add_f32_e32 v8, v12, v8
	v_add_f32_e32 v8, v8, v10
	;; [unrolled: 1-line block ×4, first 2 shown]
	s_waitcnt lgkmcnt(0)
	v_mul_f32_e32 v10, v3, v29
	v_fma_f32 v10, v2, v28, -v10
	v_mul_f32_e32 v2, v2, v29
	v_fmac_f32_e32 v2, v3, v28
	v_add_f32_e32 v2, v8, v2
	v_mul_f32_e32 v8, v5, v31
	v_fma_f32 v8, v4, v30, -v8
	v_mul_f32_e32 v4, v4, v31
	v_fmac_f32_e32 v4, v5, v30
	v_add_f32_e32 v3, v9, v10
	v_add_f32_e32 v2, v2, v4
	;; [unrolled: 1-line block ×3, first 2 shown]
	v_mul_f32_e32 v4, s24, v2
	v_fma_f32 v4, s15, v3, -v4
	v_mul_f32_e32 v3, s24, v3
	v_fmac_f32_e32 v3, s15, v2
	s_waitcnt vmcnt(0)
	v_add_f32_e32 v2, v6, v4
	v_add_f32_e32 v3, v7, v3
	flat_store_dwordx2 v[15:16], v[2:3]
	s_branch .LBB48_6
.LBB48_13:
	s_endpgm
	.section	.rodata,"a",@progbits
	.p2align	6, 0x0
	.amdhsa_kernel _ZL24rocblas_symm_hemm_kernelILb0ELb0ELi32E19rocblas_complex_numIfEPKPKS1_PKPS1_EvbiiT2_T3_lllSA_lllT4_llli
		.amdhsa_group_segment_fixed_size 16384
		.amdhsa_private_segment_fixed_size 0
		.amdhsa_kernarg_size 384
		.amdhsa_user_sgpr_count 6
		.amdhsa_user_sgpr_private_segment_buffer 1
		.amdhsa_user_sgpr_dispatch_ptr 0
		.amdhsa_user_sgpr_queue_ptr 0
		.amdhsa_user_sgpr_kernarg_segment_ptr 1
		.amdhsa_user_sgpr_dispatch_id 0
		.amdhsa_user_sgpr_flat_scratch_init 0
		.amdhsa_user_sgpr_private_segment_size 0
		.amdhsa_uses_dynamic_stack 0
		.amdhsa_system_sgpr_private_segment_wavefront_offset 0
		.amdhsa_system_sgpr_workgroup_id_x 1
		.amdhsa_system_sgpr_workgroup_id_y 1
		.amdhsa_system_sgpr_workgroup_id_z 1
		.amdhsa_system_sgpr_workgroup_info 0
		.amdhsa_system_vgpr_workitem_id 1
		.amdhsa_next_free_vgpr 37
		.amdhsa_next_free_sgpr 61
		.amdhsa_reserve_vcc 1
		.amdhsa_reserve_flat_scratch 0
		.amdhsa_float_round_mode_32 0
		.amdhsa_float_round_mode_16_64 0
		.amdhsa_float_denorm_mode_32 3
		.amdhsa_float_denorm_mode_16_64 3
		.amdhsa_dx10_clamp 1
		.amdhsa_ieee_mode 1
		.amdhsa_fp16_overflow 0
		.amdhsa_exception_fp_ieee_invalid_op 0
		.amdhsa_exception_fp_denorm_src 0
		.amdhsa_exception_fp_ieee_div_zero 0
		.amdhsa_exception_fp_ieee_overflow 0
		.amdhsa_exception_fp_ieee_underflow 0
		.amdhsa_exception_fp_ieee_inexact 0
		.amdhsa_exception_int_div_zero 0
	.end_amdhsa_kernel
	.section	.text._ZL24rocblas_symm_hemm_kernelILb0ELb0ELi32E19rocblas_complex_numIfEPKPKS1_PKPS1_EvbiiT2_T3_lllSA_lllT4_llli,"axG",@progbits,_ZL24rocblas_symm_hemm_kernelILb0ELb0ELi32E19rocblas_complex_numIfEPKPKS1_PKPS1_EvbiiT2_T3_lllSA_lllT4_llli,comdat
.Lfunc_end48:
	.size	_ZL24rocblas_symm_hemm_kernelILb0ELb0ELi32E19rocblas_complex_numIfEPKPKS1_PKPS1_EvbiiT2_T3_lllSA_lllT4_llli, .Lfunc_end48-_ZL24rocblas_symm_hemm_kernelILb0ELb0ELi32E19rocblas_complex_numIfEPKPKS1_PKPS1_EvbiiT2_T3_lllSA_lllT4_llli
                                        ; -- End function
	.set _ZL24rocblas_symm_hemm_kernelILb0ELb0ELi32E19rocblas_complex_numIfEPKPKS1_PKPS1_EvbiiT2_T3_lllSA_lllT4_llli.num_vgpr, 37
	.set _ZL24rocblas_symm_hemm_kernelILb0ELb0ELi32E19rocblas_complex_numIfEPKPKS1_PKPS1_EvbiiT2_T3_lllSA_lllT4_llli.num_agpr, 0
	.set _ZL24rocblas_symm_hemm_kernelILb0ELb0ELi32E19rocblas_complex_numIfEPKPKS1_PKPS1_EvbiiT2_T3_lllSA_lllT4_llli.numbered_sgpr, 40
	.set _ZL24rocblas_symm_hemm_kernelILb0ELb0ELi32E19rocblas_complex_numIfEPKPKS1_PKPS1_EvbiiT2_T3_lllSA_lllT4_llli.num_named_barrier, 0
	.set _ZL24rocblas_symm_hemm_kernelILb0ELb0ELi32E19rocblas_complex_numIfEPKPKS1_PKPS1_EvbiiT2_T3_lllSA_lllT4_llli.private_seg_size, 0
	.set _ZL24rocblas_symm_hemm_kernelILb0ELb0ELi32E19rocblas_complex_numIfEPKPKS1_PKPS1_EvbiiT2_T3_lllSA_lllT4_llli.uses_vcc, 1
	.set _ZL24rocblas_symm_hemm_kernelILb0ELb0ELi32E19rocblas_complex_numIfEPKPKS1_PKPS1_EvbiiT2_T3_lllSA_lllT4_llli.uses_flat_scratch, 0
	.set _ZL24rocblas_symm_hemm_kernelILb0ELb0ELi32E19rocblas_complex_numIfEPKPKS1_PKPS1_EvbiiT2_T3_lllSA_lllT4_llli.has_dyn_sized_stack, 0
	.set _ZL24rocblas_symm_hemm_kernelILb0ELb0ELi32E19rocblas_complex_numIfEPKPKS1_PKPS1_EvbiiT2_T3_lllSA_lllT4_llli.has_recursion, 0
	.set _ZL24rocblas_symm_hemm_kernelILb0ELb0ELi32E19rocblas_complex_numIfEPKPKS1_PKPS1_EvbiiT2_T3_lllSA_lllT4_llli.has_indirect_call, 0
	.section	.AMDGPU.csdata,"",@progbits
; Kernel info:
; codeLenInByte = 2112
; TotalNumSgprs: 44
; NumVgprs: 37
; ScratchSize: 0
; MemoryBound: 0
; FloatMode: 240
; IeeeMode: 1
; LDSByteSize: 16384 bytes/workgroup (compile time only)
; SGPRBlocks: 8
; VGPRBlocks: 9
; NumSGPRsForWavesPerEU: 65
; NumVGPRsForWavesPerEU: 37
; Occupancy: 6
; WaveLimiterHint : 1
; COMPUTE_PGM_RSRC2:SCRATCH_EN: 0
; COMPUTE_PGM_RSRC2:USER_SGPR: 6
; COMPUTE_PGM_RSRC2:TRAP_HANDLER: 0
; COMPUTE_PGM_RSRC2:TGID_X_EN: 1
; COMPUTE_PGM_RSRC2:TGID_Y_EN: 1
; COMPUTE_PGM_RSRC2:TGID_Z_EN: 1
; COMPUTE_PGM_RSRC2:TIDIG_COMP_CNT: 1
	.section	.text._ZL24rocblas_symm_hemm_kernelILb0ELb1ELi32E19rocblas_complex_numIfEPKPKS1_PKPS1_EvbiiT2_T3_lllSA_lllT4_llli,"axG",@progbits,_ZL24rocblas_symm_hemm_kernelILb0ELb1ELi32E19rocblas_complex_numIfEPKPKS1_PKPS1_EvbiiT2_T3_lllSA_lllT4_llli,comdat
	.globl	_ZL24rocblas_symm_hemm_kernelILb0ELb1ELi32E19rocblas_complex_numIfEPKPKS1_PKPS1_EvbiiT2_T3_lllSA_lllT4_llli ; -- Begin function _ZL24rocblas_symm_hemm_kernelILb0ELb1ELi32E19rocblas_complex_numIfEPKPKS1_PKPS1_EvbiiT2_T3_lllSA_lllT4_llli
	.p2align	8
	.type	_ZL24rocblas_symm_hemm_kernelILb0ELb1ELi32E19rocblas_complex_numIfEPKPKS1_PKPS1_EvbiiT2_T3_lllSA_lllT4_llli,@function
_ZL24rocblas_symm_hemm_kernelILb0ELb1ELi32E19rocblas_complex_numIfEPKPKS1_PKPS1_EvbiiT2_T3_lllSA_lllT4_llli: ; @_ZL24rocblas_symm_hemm_kernelILb0ELb1ELi32E19rocblas_complex_numIfEPKPKS1_PKPS1_EvbiiT2_T3_lllSA_lllT4_llli
; %bb.0:
	s_load_dwordx4 s[12:15], s[4:5], 0x0
	s_load_dword s20, s[4:5], 0x10
	s_waitcnt lgkmcnt(0)
	v_cmp_eq_f32_e64 s[0:1], s15, 0
	v_cmp_eq_f32_e64 s[2:3], s20, 0
	s_and_b64 s[0:1], s[0:1], s[2:3]
	s_and_b64 vcc, exec, s[0:1]
	s_cbranch_vccnz .LBB49_13
; %bb.1:
	s_add_i32 s0, s14, -1
	s_ashr_i32 s1, s0, 31
	s_lshr_b32 s1, s1, 27
	s_add_i32 s0, s0, s1
	s_ashr_i32 s21, s0, 5
	s_cmp_gt_i32 s7, s21
	s_cbranch_scc1 .LBB49_13
; %bb.2:
	s_load_dwordx4 s[0:3], s[4:5], 0x18
	s_load_dwordx2 s[10:11], s[4:5], 0x28
	s_mov_b32 s9, 0
	s_lshl_b64 s[18:19], s[8:9], 3
	v_lshl_add_u32 v2, s6, 5, v0
	s_waitcnt lgkmcnt(0)
	s_add_u32 s0, s0, s18
	s_addc_u32 s1, s1, s19
	s_load_dwordx2 s[22:23], s[0:1], 0x0
	s_load_dwordx4 s[24:27], s[4:5], 0x38
	s_load_dwordx2 s[8:9], s[4:5], 0x48
	s_load_dwordx2 s[16:17], s[4:5], 0x68
	s_load_dwordx4 s[28:31], s[4:5], 0x58
	s_lshl_b64 s[0:1], s[2:3], 3
	s_waitcnt lgkmcnt(0)
	s_add_u32 s22, s22, s0
	s_addc_u32 s23, s23, s1
	s_add_u32 s0, s24, s18
	s_addc_u32 s1, s25, s19
	;; [unrolled: 2-line block ×3, first 2 shown]
	s_load_dwordx2 s[18:19], s[2:3], 0x0
	s_load_dwordx2 s[24:25], s[0:1], 0x0
	s_bitcmp1_b32 s12, 0
	s_cselect_b64 s[0:1], -1, 0
	s_lshl_b64 s[2:3], s[30:31], 3
	s_waitcnt lgkmcnt(0)
	s_add_u32 s12, s18, s2
	s_addc_u32 s18, s19, s3
	s_lshl_b64 s[2:3], s[26:27], 3
	s_add_u32 s19, s24, s2
	v_ashrrev_i32_e32 v3, 31, v2
	s_addc_u32 s24, s25, s3
	v_cmp_gt_i32_e64 s[2:3], s13, v2
	v_lshlrev_b64 v[2:3], 3, v[2:3]
	s_load_dword s6, s[4:5], 0x84
	s_cmp_gt_i32 s14, 0
	v_mov_b32_e32 v4, s24
	v_add_co_u32_e32 v16, vcc, s19, v2
	v_addc_co_u32_e32 v17, vcc, v4, v3, vcc
	v_lshlrev_b32_e32 v18, 8, v0
	v_lshlrev_b32_e32 v4, 3, v1
	s_cselect_b64 s[4:5], -1, 0
	v_add_u32_e32 v19, v18, v4
	v_or_b32_e32 v20, 0x2000, v4
	v_mov_b32_e32 v4, s18
	v_add_co_u32_e32 v22, vcc, s12, v2
	v_cndmask_b32_e64 v2, 0, 1, s[4:5]
	v_add_u32_e32 v21, v20, v18
	v_addc_co_u32_e32 v23, vcc, v4, v3, vcc
	v_cmp_ne_u32_e64 s[4:5], 1, v2
	v_add_u32_e32 v24, 0x800, v20
	v_add_u32_e32 v25, 0x1000, v20
	;; [unrolled: 1-line block ×3, first 2 shown]
	s_branch .LBB49_4
.LBB49_3:                               ;   in Loop: Header=BB49_4 Depth=1
	s_waitcnt lgkmcnt(0)
	s_add_i32 s7, s7, s6
	s_cmp_gt_i32 s7, s21
	s_cbranch_scc1 .LBB49_13
.LBB49_4:                               ; =>This Loop Header: Depth=1
                                        ;     Child Loop BB49_7 Depth 2
	s_and_b64 vcc, exec, s[4:5]
	s_cbranch_vccnz .LBB49_3
; %bb.5:                                ;   in Loop: Header=BB49_4 Depth=1
	v_lshl_add_u32 v27, s7, 5, v1
	v_ashrrev_i32_e32 v2, 31, v27
	v_mul_lo_u32 v4, s16, v2
	v_mul_lo_u32 v5, s17, v27
	v_mad_u64_u32 v[2:3], s[12:13], s16, v27, 0
	v_cmp_gt_i32_e32 vcc, s14, v27
	s_and_b64 s[12:13], s[2:3], vcc
	v_add3_u32 v3, v3, v4, v5
	v_lshlrev_b64 v[2:3], 3, v[2:3]
	s_mov_b32 s24, 0
	v_add_co_u32_e32 v14, vcc, v22, v2
	v_addc_co_u32_e32 v15, vcc, v23, v3, vcc
	s_branch .LBB49_7
.LBB49_6:                               ;   in Loop: Header=BB49_7 Depth=2
	s_or_b64 exec, exec, s[18:19]
	s_add_i32 s24, s24, 32
	s_cmp_ge_i32 s24, s14
	s_waitcnt vmcnt(0) lgkmcnt(0)
	s_barrier
	s_cbranch_scc1 .LBB49_3
.LBB49_7:                               ;   Parent Loop BB49_4 Depth=1
                                        ; =>  This Inner Loop Header: Depth=2
	v_add_u32_e32 v5, s24, v1
	v_cmp_gt_i32_e32 vcc, s14, v5
	s_and_b64 s[26:27], s[2:3], vcc
	v_mov_b32_e32 v2, 0
	v_mov_b32_e32 v3, 0
	;; [unrolled: 1-line block ×3, first 2 shown]
	s_and_saveexec_b64 s[18:19], s[26:27]
	s_cbranch_execz .LBB49_9
; %bb.8:                                ;   in Loop: Header=BB49_7 Depth=2
	v_ashrrev_i32_e32 v6, 31, v5
	v_mul_lo_u32 v7, s9, v5
	v_mad_u64_u32 v[3:4], s[26:27], s8, v5, 0
	v_mul_lo_u32 v5, s8, v6
	v_add3_u32 v4, v4, v5, v7
	v_lshlrev_b64 v[3:4], 3, v[3:4]
	v_add_co_u32_e32 v3, vcc, v16, v3
	v_addc_co_u32_e32 v4, vcc, v17, v4, vcc
	flat_load_dwordx2 v[3:4], v[3:4]
.LBB49_9:                               ;   in Loop: Header=BB49_7 Depth=2
	s_or_b64 exec, exec, s[18:19]
	s_waitcnt vmcnt(0) lgkmcnt(0)
	ds_write_b64 v19, v[3:4]
	v_add_u32_e32 v3, s24, v0
	v_cndmask_b32_e64 v4, v27, v3, s[0:1]
	v_cndmask_b32_e64 v5, v3, v27, s[0:1]
	v_cmp_gt_i32_e32 vcc, v4, v5
	v_cndmask_b32_e32 v4, v3, v27, vcc
	v_cndmask_b32_e32 v5, v27, v3, vcc
	v_max_i32_e32 v3, v4, v5
	v_cmp_gt_i32_e32 vcc, s14, v3
	v_mov_b32_e32 v3, 0
	s_and_saveexec_b64 s[18:19], vcc
	s_cbranch_execz .LBB49_11
; %bb.10:                               ;   in Loop: Header=BB49_7 Depth=2
	v_ashrrev_i32_e32 v6, 31, v5
	v_mul_lo_u32 v7, s11, v5
	v_mad_u64_u32 v[2:3], s[26:27], s10, v5, 0
	v_mul_lo_u32 v5, s10, v6
	v_mov_b32_e32 v6, s23
	v_add3_u32 v3, v3, v5, v7
	v_lshlrev_b64 v[2:3], 3, v[2:3]
	v_ashrrev_i32_e32 v5, 31, v4
	v_add_co_u32_e32 v7, vcc, s22, v2
	v_addc_co_u32_e32 v6, vcc, v6, v3, vcc
	v_lshlrev_b64 v[2:3], 3, v[4:5]
	v_add_co_u32_e32 v2, vcc, v7, v2
	v_addc_co_u32_e32 v3, vcc, v6, v3, vcc
	flat_load_dwordx2 v[2:3], v[2:3]
.LBB49_11:                              ;   in Loop: Header=BB49_7 Depth=2
	s_or_b64 exec, exec, s[18:19]
	s_waitcnt vmcnt(0) lgkmcnt(0)
	ds_write_b64 v21, v[2:3]
	s_waitcnt lgkmcnt(0)
	s_barrier
	s_and_saveexec_b64 s[18:19], s[12:13]
	s_cbranch_execz .LBB49_6
; %bb.12:                               ;   in Loop: Header=BB49_7 Depth=2
	ds_read2_b64 v[2:5], v20 offset1:32
	ds_read_b128 v[6:9], v18
	ds_read_b128 v[10:13], v18 offset:16
	s_waitcnt lgkmcnt(1)
	v_mul_f32_e32 v28, v3, v7
	v_fma_f32 v33, v2, v6, -v28
	ds_read2_b64 v[28:31], v20 offset0:64 offset1:96
	v_mul_f32_e32 v32, v2, v7
	v_mul_f32_e32 v2, v5, v9
	v_fma_f32 v34, v4, v8, -v2
	v_fmac_f32_e32 v32, v3, v6
	s_waitcnt lgkmcnt(0)
	v_mul_f32_e32 v2, v29, v11
	v_mul_f32_e32 v35, v4, v9
	v_fma_f32 v36, v28, v10, -v2
	v_mul_f32_e32 v28, v28, v11
	v_mul_f32_e32 v2, v31, v13
	v_fmac_f32_e32 v35, v5, v8
	v_fmac_f32_e32 v28, v29, v10
	v_fma_f32 v29, v30, v12, -v2
	v_mul_f32_e32 v30, v30, v13
	v_add_f32_e32 v10, 0, v33
	v_add_f32_e32 v11, 0, v32
	v_fmac_f32_e32 v30, v31, v12
	ds_read_b128 v[2:5], v18 offset:32
	ds_read_b128 v[6:9], v18 offset:48
	v_add_f32_e32 v31, v10, v34
	v_add_f32_e32 v32, v11, v35
	ds_read2_b64 v[10:13], v20 offset0:128 offset1:160
	v_add_f32_e32 v28, v32, v28
	v_add_f32_e32 v31, v31, v36
	;; [unrolled: 1-line block ×4, first 2 shown]
	s_waitcnt lgkmcnt(0)
	v_mul_f32_e32 v30, v11, v3
	v_mul_f32_e32 v3, v10, v3
	v_fma_f32 v30, v10, v2, -v30
	v_fmac_f32_e32 v3, v11, v2
	v_add_f32_e32 v2, v29, v30
	v_add_f32_e32 v3, v28, v3
	ds_read2_b64 v[28:31], v20 offset0:192 offset1:224
	v_mul_f32_e32 v10, v13, v5
	v_mul_f32_e32 v5, v12, v5
	v_fma_f32 v10, v12, v4, -v10
	v_fmac_f32_e32 v5, v13, v4
	s_waitcnt lgkmcnt(0)
	v_mul_f32_e32 v4, v29, v7
	v_add_f32_e32 v2, v2, v10
	v_add_f32_e32 v3, v3, v5
	v_fma_f32 v4, v28, v6, -v4
	v_mul_f32_e32 v5, v28, v7
	v_fmac_f32_e32 v5, v29, v6
	v_add_f32_e32 v6, v2, v4
	v_mul_f32_e32 v2, v31, v9
	v_add_f32_e32 v7, v3, v5
	v_fma_f32 v13, v30, v8, -v2
	v_mul_f32_e32 v28, v30, v9
	ds_read_b128 v[2:5], v18 offset:64
	ds_read2_b64 v[9:12], v24 offset1:32
	v_fmac_f32_e32 v28, v31, v8
	v_add_f32_e32 v6, v6, v13
	v_add_f32_e32 v7, v7, v28
	ds_read_b128 v[28:31], v18 offset:80
	s_waitcnt lgkmcnt(1)
	v_mul_f32_e32 v8, v10, v3
	v_fma_f32 v8, v9, v2, -v8
	v_mul_f32_e32 v3, v9, v3
	v_fmac_f32_e32 v3, v10, v2
	v_add_f32_e32 v2, v6, v8
	v_mul_f32_e32 v6, v12, v5
	v_add_f32_e32 v3, v7, v3
	v_fma_f32 v10, v11, v4, -v6
	ds_read2_b64 v[6:9], v24 offset0:64 offset1:96
	v_mul_f32_e32 v5, v11, v5
	v_fmac_f32_e32 v5, v12, v4
	v_add_f32_e32 v2, v2, v10
	v_add_f32_e32 v3, v3, v5
	s_waitcnt lgkmcnt(0)
	v_mul_f32_e32 v4, v7, v29
	v_fma_f32 v4, v6, v28, -v4
	v_mul_f32_e32 v5, v6, v29
	v_fmac_f32_e32 v5, v7, v28
	v_add_f32_e32 v6, v2, v4
	v_mul_f32_e32 v2, v9, v31
	v_add_f32_e32 v7, v3, v5
	v_fma_f32 v28, v8, v30, -v2
	ds_read_b128 v[2:5], v18 offset:96
	ds_read2_b64 v[10:13], v24 offset0:128 offset1:160
	v_mul_f32_e32 v8, v8, v31
	v_fmac_f32_e32 v8, v9, v30
	v_add_f32_e32 v28, v6, v28
	v_add_f32_e32 v29, v7, v8
	s_waitcnt lgkmcnt(0)
	v_mul_f32_e32 v30, v11, v3
	v_mul_f32_e32 v3, v10, v3
	v_fma_f32 v30, v10, v2, -v30
	v_fmac_f32_e32 v3, v11, v2
	ds_read_b128 v[6:9], v18 offset:112
	v_add_f32_e32 v2, v28, v30
	v_add_f32_e32 v3, v29, v3
	ds_read2_b64 v[28:31], v24 offset0:192 offset1:224
	v_mul_f32_e32 v10, v13, v5
	v_mul_f32_e32 v5, v12, v5
	v_fma_f32 v10, v12, v4, -v10
	v_fmac_f32_e32 v5, v13, v4
	s_waitcnt lgkmcnt(0)
	v_mul_f32_e32 v4, v29, v7
	v_add_f32_e32 v2, v2, v10
	v_add_f32_e32 v3, v3, v5
	v_fma_f32 v4, v28, v6, -v4
	v_mul_f32_e32 v5, v28, v7
	v_fmac_f32_e32 v5, v29, v6
	v_add_f32_e32 v6, v2, v4
	v_mul_f32_e32 v2, v31, v9
	v_add_f32_e32 v7, v3, v5
	v_fma_f32 v13, v30, v8, -v2
	v_mul_f32_e32 v28, v30, v9
	ds_read_b128 v[2:5], v18 offset:128
	ds_read2_b64 v[9:12], v25 offset1:32
	v_fmac_f32_e32 v28, v31, v8
	v_add_f32_e32 v6, v6, v13
	v_add_f32_e32 v7, v7, v28
	ds_read_b128 v[28:31], v18 offset:144
	s_waitcnt lgkmcnt(1)
	v_mul_f32_e32 v8, v10, v3
	v_fma_f32 v8, v9, v2, -v8
	v_mul_f32_e32 v3, v9, v3
	ds_read2_b64 v[32:35], v25 offset0:64 offset1:96
	v_fmac_f32_e32 v3, v10, v2
	v_add_f32_e32 v2, v6, v8
	v_mul_f32_e32 v6, v12, v5
	v_fma_f32 v6, v11, v4, -v6
	v_mul_f32_e32 v5, v11, v5
	v_add_f32_e32 v3, v7, v3
	v_fmac_f32_e32 v5, v12, v4
	v_add_f32_e32 v2, v2, v6
	ds_read_b128 v[6:9], v18 offset:160
	ds_read2_b64 v[10:13], v25 offset0:128 offset1:160
	v_add_f32_e32 v3, v3, v5
	s_waitcnt lgkmcnt(2)
	v_mul_f32_e32 v4, v33, v29
	v_mul_f32_e32 v5, v32, v29
	v_fma_f32 v4, v32, v28, -v4
	v_fmac_f32_e32 v5, v33, v28
	v_add_f32_e32 v2, v2, v4
	v_add_f32_e32 v3, v3, v5
	v_mul_f32_e32 v4, v35, v31
	v_mul_f32_e32 v5, v34, v31
	v_fma_f32 v4, v34, v30, -v4
	v_fmac_f32_e32 v5, v35, v30
	s_waitcnt lgkmcnt(0)
	v_mul_f32_e32 v30, v11, v7
	v_mul_f32_e32 v31, v10, v7
	v_fma_f32 v30, v10, v6, -v30
	v_fmac_f32_e32 v31, v11, v6
	v_mul_f32_e32 v6, v13, v9
	v_fma_f32 v32, v12, v8, -v6
	flat_load_dwordx2 v[6:7], v[14:15]
	v_mul_f32_e32 v12, v12, v9
	v_add_f32_e32 v28, v2, v4
	v_add_f32_e32 v29, v3, v5
	ds_read_b128 v[2:5], v18 offset:176
	v_fmac_f32_e32 v12, v13, v8
	ds_read2_b64 v[8:11], v25 offset0:192 offset1:224
	v_add_f32_e32 v13, v28, v30
	v_add_f32_e32 v28, v29, v31
	;; [unrolled: 1-line block ×4, first 2 shown]
	s_waitcnt lgkmcnt(0)
	v_mul_f32_e32 v28, v9, v3
	v_mul_f32_e32 v29, v8, v3
	v_fma_f32 v28, v8, v2, -v28
	v_fmac_f32_e32 v29, v9, v2
	v_mul_f32_e32 v2, v11, v5
	v_mul_f32_e32 v30, v10, v5
	v_add_f32_e32 v13, v13, v28
	v_fma_f32 v28, v10, v4, -v2
	v_fmac_f32_e32 v30, v11, v4
	ds_read_b128 v[2:5], v18 offset:192
	ds_read2_b64 v[8:11], v26 offset1:32
	v_add_f32_e32 v12, v12, v29
	v_add_f32_e32 v13, v13, v28
	;; [unrolled: 1-line block ×3, first 2 shown]
	ds_read_b128 v[28:31], v18 offset:208
	s_waitcnt lgkmcnt(0)
	v_mul_f32_e32 v32, v9, v3
	v_fma_f32 v32, v8, v2, -v32
	v_mul_f32_e32 v8, v8, v3
	v_fmac_f32_e32 v8, v9, v2
	v_mul_f32_e32 v2, v11, v5
	v_fma_f32 v9, v10, v4, -v2
	v_mul_f32_e32 v10, v10, v5
	v_fmac_f32_e32 v10, v11, v4
	ds_read2_b64 v[2:5], v26 offset0:64 offset1:96
	v_add_f32_e32 v8, v12, v8
	v_add_f32_e32 v11, v13, v32
	;; [unrolled: 1-line block ×4, first 2 shown]
	s_waitcnt lgkmcnt(0)
	v_mul_f32_e32 v8, v3, v29
	v_fma_f32 v8, v2, v28, -v8
	v_mul_f32_e32 v13, v2, v29
	v_mul_f32_e32 v2, v5, v31
	v_mul_f32_e32 v31, v4, v31
	v_fmac_f32_e32 v13, v3, v28
	v_add_f32_e32 v28, v9, v8
	v_fma_f32 v29, v4, v30, -v2
	v_fmac_f32_e32 v31, v5, v30
	ds_read_b128 v[2:5], v18 offset:224
	ds_read2_b64 v[8:11], v26 offset0:128 offset1:160
	v_add_f32_e32 v12, v12, v13
	v_add_f32_e32 v13, v28, v29
	;; [unrolled: 1-line block ×3, first 2 shown]
	ds_read_b128 v[28:31], v18 offset:240
	s_waitcnt lgkmcnt(0)
	v_mul_f32_e32 v32, v9, v3
	v_fma_f32 v32, v8, v2, -v32
	v_mul_f32_e32 v8, v8, v3
	v_fmac_f32_e32 v8, v9, v2
	v_mul_f32_e32 v2, v11, v5
	v_fma_f32 v9, v10, v4, -v2
	v_mul_f32_e32 v10, v10, v5
	v_fmac_f32_e32 v10, v11, v4
	ds_read2_b64 v[2:5], v26 offset0:192 offset1:224
	v_add_f32_e32 v8, v12, v8
	v_add_f32_e32 v8, v8, v10
	;; [unrolled: 1-line block ×4, first 2 shown]
	s_waitcnt lgkmcnt(0)
	v_mul_f32_e32 v10, v3, v29
	v_fma_f32 v10, v2, v28, -v10
	v_mul_f32_e32 v2, v2, v29
	v_fmac_f32_e32 v2, v3, v28
	v_add_f32_e32 v2, v8, v2
	v_mul_f32_e32 v8, v5, v31
	v_fma_f32 v8, v4, v30, -v8
	v_mul_f32_e32 v4, v4, v31
	v_fmac_f32_e32 v4, v5, v30
	v_add_f32_e32 v3, v9, v10
	v_add_f32_e32 v2, v2, v4
	;; [unrolled: 1-line block ×3, first 2 shown]
	v_mul_f32_e32 v4, s20, v2
	v_fma_f32 v4, s15, v3, -v4
	v_mul_f32_e32 v3, s20, v3
	v_fmac_f32_e32 v3, s15, v2
	s_waitcnt vmcnt(0)
	v_add_f32_e32 v2, v6, v4
	v_add_f32_e32 v3, v7, v3
	flat_store_dwordx2 v[14:15], v[2:3]
	s_branch .LBB49_6
.LBB49_13:
	s_endpgm
	.section	.rodata,"a",@progbits
	.p2align	6, 0x0
	.amdhsa_kernel _ZL24rocblas_symm_hemm_kernelILb0ELb1ELi32E19rocblas_complex_numIfEPKPKS1_PKPS1_EvbiiT2_T3_lllSA_lllT4_llli
		.amdhsa_group_segment_fixed_size 16384
		.amdhsa_private_segment_fixed_size 0
		.amdhsa_kernarg_size 384
		.amdhsa_user_sgpr_count 6
		.amdhsa_user_sgpr_private_segment_buffer 1
		.amdhsa_user_sgpr_dispatch_ptr 0
		.amdhsa_user_sgpr_queue_ptr 0
		.amdhsa_user_sgpr_kernarg_segment_ptr 1
		.amdhsa_user_sgpr_dispatch_id 0
		.amdhsa_user_sgpr_flat_scratch_init 0
		.amdhsa_user_sgpr_private_segment_size 0
		.amdhsa_uses_dynamic_stack 0
		.amdhsa_system_sgpr_private_segment_wavefront_offset 0
		.amdhsa_system_sgpr_workgroup_id_x 1
		.amdhsa_system_sgpr_workgroup_id_y 1
		.amdhsa_system_sgpr_workgroup_id_z 1
		.amdhsa_system_sgpr_workgroup_info 0
		.amdhsa_system_vgpr_workitem_id 1
		.amdhsa_next_free_vgpr 37
		.amdhsa_next_free_sgpr 61
		.amdhsa_reserve_vcc 1
		.amdhsa_reserve_flat_scratch 0
		.amdhsa_float_round_mode_32 0
		.amdhsa_float_round_mode_16_64 0
		.amdhsa_float_denorm_mode_32 3
		.amdhsa_float_denorm_mode_16_64 3
		.amdhsa_dx10_clamp 1
		.amdhsa_ieee_mode 1
		.amdhsa_fp16_overflow 0
		.amdhsa_exception_fp_ieee_invalid_op 0
		.amdhsa_exception_fp_denorm_src 0
		.amdhsa_exception_fp_ieee_div_zero 0
		.amdhsa_exception_fp_ieee_overflow 0
		.amdhsa_exception_fp_ieee_underflow 0
		.amdhsa_exception_fp_ieee_inexact 0
		.amdhsa_exception_int_div_zero 0
	.end_amdhsa_kernel
	.section	.text._ZL24rocblas_symm_hemm_kernelILb0ELb1ELi32E19rocblas_complex_numIfEPKPKS1_PKPS1_EvbiiT2_T3_lllSA_lllT4_llli,"axG",@progbits,_ZL24rocblas_symm_hemm_kernelILb0ELb1ELi32E19rocblas_complex_numIfEPKPKS1_PKPS1_EvbiiT2_T3_lllSA_lllT4_llli,comdat
.Lfunc_end49:
	.size	_ZL24rocblas_symm_hemm_kernelILb0ELb1ELi32E19rocblas_complex_numIfEPKPKS1_PKPS1_EvbiiT2_T3_lllSA_lllT4_llli, .Lfunc_end49-_ZL24rocblas_symm_hemm_kernelILb0ELb1ELi32E19rocblas_complex_numIfEPKPKS1_PKPS1_EvbiiT2_T3_lllSA_lllT4_llli
                                        ; -- End function
	.set _ZL24rocblas_symm_hemm_kernelILb0ELb1ELi32E19rocblas_complex_numIfEPKPKS1_PKPS1_EvbiiT2_T3_lllSA_lllT4_llli.num_vgpr, 37
	.set _ZL24rocblas_symm_hemm_kernelILb0ELb1ELi32E19rocblas_complex_numIfEPKPKS1_PKPS1_EvbiiT2_T3_lllSA_lllT4_llli.num_agpr, 0
	.set _ZL24rocblas_symm_hemm_kernelILb0ELb1ELi32E19rocblas_complex_numIfEPKPKS1_PKPS1_EvbiiT2_T3_lllSA_lllT4_llli.numbered_sgpr, 32
	.set _ZL24rocblas_symm_hemm_kernelILb0ELb1ELi32E19rocblas_complex_numIfEPKPKS1_PKPS1_EvbiiT2_T3_lllSA_lllT4_llli.num_named_barrier, 0
	.set _ZL24rocblas_symm_hemm_kernelILb0ELb1ELi32E19rocblas_complex_numIfEPKPKS1_PKPS1_EvbiiT2_T3_lllSA_lllT4_llli.private_seg_size, 0
	.set _ZL24rocblas_symm_hemm_kernelILb0ELb1ELi32E19rocblas_complex_numIfEPKPKS1_PKPS1_EvbiiT2_T3_lllSA_lllT4_llli.uses_vcc, 1
	.set _ZL24rocblas_symm_hemm_kernelILb0ELb1ELi32E19rocblas_complex_numIfEPKPKS1_PKPS1_EvbiiT2_T3_lllSA_lllT4_llli.uses_flat_scratch, 0
	.set _ZL24rocblas_symm_hemm_kernelILb0ELb1ELi32E19rocblas_complex_numIfEPKPKS1_PKPS1_EvbiiT2_T3_lllSA_lllT4_llli.has_dyn_sized_stack, 0
	.set _ZL24rocblas_symm_hemm_kernelILb0ELb1ELi32E19rocblas_complex_numIfEPKPKS1_PKPS1_EvbiiT2_T3_lllSA_lllT4_llli.has_recursion, 0
	.set _ZL24rocblas_symm_hemm_kernelILb0ELb1ELi32E19rocblas_complex_numIfEPKPKS1_PKPS1_EvbiiT2_T3_lllSA_lllT4_llli.has_indirect_call, 0
	.section	.AMDGPU.csdata,"",@progbits
; Kernel info:
; codeLenInByte = 2044
; TotalNumSgprs: 36
; NumVgprs: 37
; ScratchSize: 0
; MemoryBound: 0
; FloatMode: 240
; IeeeMode: 1
; LDSByteSize: 16384 bytes/workgroup (compile time only)
; SGPRBlocks: 8
; VGPRBlocks: 9
; NumSGPRsForWavesPerEU: 65
; NumVGPRsForWavesPerEU: 37
; Occupancy: 6
; WaveLimiterHint : 1
; COMPUTE_PGM_RSRC2:SCRATCH_EN: 0
; COMPUTE_PGM_RSRC2:USER_SGPR: 6
; COMPUTE_PGM_RSRC2:TRAP_HANDLER: 0
; COMPUTE_PGM_RSRC2:TGID_X_EN: 1
; COMPUTE_PGM_RSRC2:TGID_Y_EN: 1
; COMPUTE_PGM_RSRC2:TGID_Z_EN: 1
; COMPUTE_PGM_RSRC2:TIDIG_COMP_CNT: 1
	.section	.text._ZL25rocblas_symm_scale_kernelILi128ELi8EPK19rocblas_complex_numIdEPKPS1_EviiT1_T2_llli,"axG",@progbits,_ZL25rocblas_symm_scale_kernelILi128ELi8EPK19rocblas_complex_numIdEPKPS1_EviiT1_T2_llli,comdat
	.globl	_ZL25rocblas_symm_scale_kernelILi128ELi8EPK19rocblas_complex_numIdEPKPS1_EviiT1_T2_llli ; -- Begin function _ZL25rocblas_symm_scale_kernelILi128ELi8EPK19rocblas_complex_numIdEPKPS1_EviiT1_T2_llli
	.p2align	8
	.type	_ZL25rocblas_symm_scale_kernelILi128ELi8EPK19rocblas_complex_numIdEPKPS1_EviiT1_T2_llli,@function
_ZL25rocblas_symm_scale_kernelILi128ELi8EPK19rocblas_complex_numIdEPKPS1_EviiT1_T2_llli: ; @_ZL25rocblas_symm_scale_kernelILi128ELi8EPK19rocblas_complex_numIdEPKPS1_EviiT1_T2_llli
; %bb.0:
	s_load_dwordx8 s[12:19], s[4:5], 0x8
	s_waitcnt lgkmcnt(0)
	s_load_dwordx4 s[20:23], s[12:13], 0x0
	s_waitcnt lgkmcnt(0)
	v_cmp_eq_f64_e64 s[0:1], s[20:21], 1.0
	v_cmp_eq_f64_e64 s[2:3], s[22:23], 0
	s_and_b64 s[0:1], s[0:1], s[2:3]
	s_and_b64 vcc, exec, s[0:1]
	s_cbranch_vccnz .LBB50_6
; %bb.1:
	s_load_dwordx2 s[0:1], s[4:5], 0x0
	v_lshl_add_u32 v4, s7, 3, v1
	v_mov_b32_e32 v5, 0
	v_lshl_add_u32 v0, s6, 7, v0
	s_waitcnt lgkmcnt(0)
	s_ashr_i32 s3, s1, 31
	s_mov_b32 s2, s1
	v_cmp_gt_i64_e32 vcc, s[2:3], v[4:5]
	v_cmp_gt_u32_e64 s[0:1], s0, v0
	s_and_b64 s[0:1], s[0:1], vcc
	s_and_saveexec_b64 s[6:7], s[0:1]
	s_cbranch_execz .LBB50_6
; %bb.2:
	v_mad_u64_u32 v[2:3], s[6:7], s18, v4, 0
	s_mov_b32 s9, 0
	s_lshl_b64 s[0:1], s[8:9], 3
	v_mov_b32_e32 v1, v3
	s_load_dword s8, s[4:5], 0x3c
	v_mad_u64_u32 v[6:7], s[4:5], s19, v4, v[1:2]
	s_add_u32 s0, s14, s0
	s_addc_u32 s1, s15, s1
	v_mov_b32_e32 v3, v6
	v_cmp_neq_f64_e64 s[10:11], s[20:21], 0
	v_cmp_neq_f64_e64 s[12:13], s[22:23], 0
	v_lshlrev_b64 v[2:3], 4, v[2:3]
	s_load_dwordx2 s[0:1], s[0:1], 0x0
	v_mov_b32_e32 v1, v5
	s_lshl_b64 s[4:5], s[16:17], 4
	v_mov_b32_e32 v6, s5
	v_add_co_u32_e32 v2, vcc, s4, v2
	v_lshlrev_b64 v[0:1], 4, v[0:1]
	v_addc_co_u32_e32 v3, vcc, v3, v6, vcc
	v_add_co_u32_e32 v0, vcc, v2, v0
	s_waitcnt lgkmcnt(0)
	s_lshl_b32 s8, s8, 3
	v_addc_co_u32_e32 v1, vcc, v3, v1, vcc
	v_mov_b32_e32 v2, s1
	v_add_co_u32_e32 v6, vcc, s0, v0
	s_mul_i32 s0, s19, s8
	s_mul_hi_u32 s1, s18, s8
	s_add_i32 s1, s1, s0
	s_mul_i32 s0, s18, s8
	s_lshl_b64 s[4:5], s[0:1], 4
	s_or_b64 s[0:1], s[10:11], s[12:13]
	v_cndmask_b32_e64 v0, 0, 1, s[0:1]
	s_mov_b64 s[6:7], 0
	v_addc_co_u32_e32 v7, vcc, v2, v1, vcc
	v_cmp_ne_u32_e64 s[0:1], 1, v0
	s_branch .LBB50_4
.LBB50_3:                               ;   in Loop: Header=BB50_4 Depth=1
	v_add_co_u32_e32 v4, vcc, s8, v4
	v_addc_co_u32_e32 v5, vcc, 0, v5, vcc
	v_cmp_le_i64_e32 vcc, s[2:3], v[4:5]
	flat_store_dwordx4 v[6:7], v[0:3]
	s_or_b64 s[6:7], vcc, s[6:7]
	v_mov_b32_e32 v0, s5
	v_add_co_u32_e32 v6, vcc, s4, v6
	v_addc_co_u32_e32 v7, vcc, v7, v0, vcc
	s_andn2_b64 exec, exec, s[6:7]
	s_cbranch_execz .LBB50_6
.LBB50_4:                               ; =>This Inner Loop Header: Depth=1
	v_mov_b32_e32 v2, 0
	v_mov_b32_e32 v0, 0
	;; [unrolled: 1-line block ×3, first 2 shown]
	s_and_b64 vcc, exec, s[0:1]
	v_mov_b32_e32 v1, 0
	s_cbranch_vccnz .LBB50_3
; %bb.5:                                ;   in Loop: Header=BB50_4 Depth=1
	flat_load_dwordx4 v[8:11], v[6:7]
	s_waitcnt vmcnt(0) lgkmcnt(0)
	v_mul_f64 v[0:1], s[22:23], v[10:11]
	v_mul_f64 v[2:3], s[20:21], v[10:11]
	v_fma_f64 v[0:1], s[20:21], v[8:9], -v[0:1]
	v_fma_f64 v[2:3], s[22:23], v[8:9], v[2:3]
	s_branch .LBB50_3
.LBB50_6:
	s_endpgm
	.section	.rodata,"a",@progbits
	.p2align	6, 0x0
	.amdhsa_kernel _ZL25rocblas_symm_scale_kernelILi128ELi8EPK19rocblas_complex_numIdEPKPS1_EviiT1_T2_llli
		.amdhsa_group_segment_fixed_size 0
		.amdhsa_private_segment_fixed_size 0
		.amdhsa_kernarg_size 312
		.amdhsa_user_sgpr_count 6
		.amdhsa_user_sgpr_private_segment_buffer 1
		.amdhsa_user_sgpr_dispatch_ptr 0
		.amdhsa_user_sgpr_queue_ptr 0
		.amdhsa_user_sgpr_kernarg_segment_ptr 1
		.amdhsa_user_sgpr_dispatch_id 0
		.amdhsa_user_sgpr_flat_scratch_init 0
		.amdhsa_user_sgpr_private_segment_size 0
		.amdhsa_uses_dynamic_stack 0
		.amdhsa_system_sgpr_private_segment_wavefront_offset 0
		.amdhsa_system_sgpr_workgroup_id_x 1
		.amdhsa_system_sgpr_workgroup_id_y 1
		.amdhsa_system_sgpr_workgroup_id_z 1
		.amdhsa_system_sgpr_workgroup_info 0
		.amdhsa_system_vgpr_workitem_id 1
		.amdhsa_next_free_vgpr 12
		.amdhsa_next_free_sgpr 24
		.amdhsa_reserve_vcc 1
		.amdhsa_reserve_flat_scratch 0
		.amdhsa_float_round_mode_32 0
		.amdhsa_float_round_mode_16_64 0
		.amdhsa_float_denorm_mode_32 3
		.amdhsa_float_denorm_mode_16_64 3
		.amdhsa_dx10_clamp 1
		.amdhsa_ieee_mode 1
		.amdhsa_fp16_overflow 0
		.amdhsa_exception_fp_ieee_invalid_op 0
		.amdhsa_exception_fp_denorm_src 0
		.amdhsa_exception_fp_ieee_div_zero 0
		.amdhsa_exception_fp_ieee_overflow 0
		.amdhsa_exception_fp_ieee_underflow 0
		.amdhsa_exception_fp_ieee_inexact 0
		.amdhsa_exception_int_div_zero 0
	.end_amdhsa_kernel
	.section	.text._ZL25rocblas_symm_scale_kernelILi128ELi8EPK19rocblas_complex_numIdEPKPS1_EviiT1_T2_llli,"axG",@progbits,_ZL25rocblas_symm_scale_kernelILi128ELi8EPK19rocblas_complex_numIdEPKPS1_EviiT1_T2_llli,comdat
.Lfunc_end50:
	.size	_ZL25rocblas_symm_scale_kernelILi128ELi8EPK19rocblas_complex_numIdEPKPS1_EviiT1_T2_llli, .Lfunc_end50-_ZL25rocblas_symm_scale_kernelILi128ELi8EPK19rocblas_complex_numIdEPKPS1_EviiT1_T2_llli
                                        ; -- End function
	.set _ZL25rocblas_symm_scale_kernelILi128ELi8EPK19rocblas_complex_numIdEPKPS1_EviiT1_T2_llli.num_vgpr, 12
	.set _ZL25rocblas_symm_scale_kernelILi128ELi8EPK19rocblas_complex_numIdEPKPS1_EviiT1_T2_llli.num_agpr, 0
	.set _ZL25rocblas_symm_scale_kernelILi128ELi8EPK19rocblas_complex_numIdEPKPS1_EviiT1_T2_llli.numbered_sgpr, 24
	.set _ZL25rocblas_symm_scale_kernelILi128ELi8EPK19rocblas_complex_numIdEPKPS1_EviiT1_T2_llli.num_named_barrier, 0
	.set _ZL25rocblas_symm_scale_kernelILi128ELi8EPK19rocblas_complex_numIdEPKPS1_EviiT1_T2_llli.private_seg_size, 0
	.set _ZL25rocblas_symm_scale_kernelILi128ELi8EPK19rocblas_complex_numIdEPKPS1_EviiT1_T2_llli.uses_vcc, 1
	.set _ZL25rocblas_symm_scale_kernelILi128ELi8EPK19rocblas_complex_numIdEPKPS1_EviiT1_T2_llli.uses_flat_scratch, 0
	.set _ZL25rocblas_symm_scale_kernelILi128ELi8EPK19rocblas_complex_numIdEPKPS1_EviiT1_T2_llli.has_dyn_sized_stack, 0
	.set _ZL25rocblas_symm_scale_kernelILi128ELi8EPK19rocblas_complex_numIdEPKPS1_EviiT1_T2_llli.has_recursion, 0
	.set _ZL25rocblas_symm_scale_kernelILi128ELi8EPK19rocblas_complex_numIdEPKPS1_EviiT1_T2_llli.has_indirect_call, 0
	.section	.AMDGPU.csdata,"",@progbits
; Kernel info:
; codeLenInByte = 420
; TotalNumSgprs: 28
; NumVgprs: 12
; ScratchSize: 0
; MemoryBound: 0
; FloatMode: 240
; IeeeMode: 1
; LDSByteSize: 0 bytes/workgroup (compile time only)
; SGPRBlocks: 3
; VGPRBlocks: 2
; NumSGPRsForWavesPerEU: 28
; NumVGPRsForWavesPerEU: 12
; Occupancy: 10
; WaveLimiterHint : 0
; COMPUTE_PGM_RSRC2:SCRATCH_EN: 0
; COMPUTE_PGM_RSRC2:USER_SGPR: 6
; COMPUTE_PGM_RSRC2:TRAP_HANDLER: 0
; COMPUTE_PGM_RSRC2:TGID_X_EN: 1
; COMPUTE_PGM_RSRC2:TGID_Y_EN: 1
; COMPUTE_PGM_RSRC2:TGID_Z_EN: 1
; COMPUTE_PGM_RSRC2:TIDIG_COMP_CNT: 1
	.section	.text._ZL24rocblas_symm_hemm_kernelILb0ELb0ELi32EPK19rocblas_complex_numIdEPKS3_PKPS1_EvbiiT2_T3_lllSA_lllT4_llli,"axG",@progbits,_ZL24rocblas_symm_hemm_kernelILb0ELb0ELi32EPK19rocblas_complex_numIdEPKS3_PKPS1_EvbiiT2_T3_lllSA_lllT4_llli,comdat
	.globl	_ZL24rocblas_symm_hemm_kernelILb0ELb0ELi32EPK19rocblas_complex_numIdEPKS3_PKPS1_EvbiiT2_T3_lllSA_lllT4_llli ; -- Begin function _ZL24rocblas_symm_hemm_kernelILb0ELb0ELi32EPK19rocblas_complex_numIdEPKS3_PKPS1_EvbiiT2_T3_lllSA_lllT4_llli
	.p2align	8
	.type	_ZL24rocblas_symm_hemm_kernelILb0ELb0ELi32EPK19rocblas_complex_numIdEPKS3_PKPS1_EvbiiT2_T3_lllSA_lllT4_llli,@function
_ZL24rocblas_symm_hemm_kernelILb0ELb0ELi32EPK19rocblas_complex_numIdEPKS3_PKPS1_EvbiiT2_T3_lllSA_lllT4_llli: ; @_ZL24rocblas_symm_hemm_kernelILb0ELb0ELi32EPK19rocblas_complex_numIdEPKS3_PKPS1_EvbiiT2_T3_lllSA_lllT4_llli
; %bb.0:
	s_load_dwordx8 s[12:19], s[4:5], 0x10
	s_waitcnt lgkmcnt(0)
	s_load_dwordx4 s[20:23], s[12:13], 0x0
	s_waitcnt lgkmcnt(0)
	v_cmp_eq_f64_e64 s[0:1], s[20:21], 0
	v_cmp_eq_f64_e64 s[2:3], s[22:23], 0
	s_and_b64 s[0:1], s[0:1], s[2:3]
	s_and_b64 vcc, exec, s[0:1]
	s_cbranch_vccnz .LBB51_13
; %bb.1:
	s_load_dwordx4 s[24:27], s[4:5], 0x0
	s_waitcnt lgkmcnt(0)
	s_add_i32 s0, s26, -1
	s_ashr_i32 s1, s0, 31
	s_lshr_b32 s1, s1, 27
	s_add_i32 s0, s0, s1
	s_ashr_i32 s27, s0, 5
	s_cmp_gt_i32 s7, s27
	s_cbranch_scc1 .LBB51_13
; %bb.2:
	s_mov_b32 s9, 0
	s_lshl_b64 s[8:9], s[8:9], 3
	s_add_u32 s12, s14, s8
	s_addc_u32 s13, s15, s9
	s_load_dwordx2 s[14:15], s[12:13], 0x0
	s_load_dwordx4 s[0:3], s[4:5], 0x38
	s_load_dwordx2 s[10:11], s[4:5], 0x48
	s_lshl_b64 s[12:13], s[16:17], 4
	v_lshl_add_u32 v14, s6, 5, v0
	s_waitcnt lgkmcnt(0)
	s_add_u32 s28, s14, s12
	s_addc_u32 s29, s15, s13
	s_add_u32 s0, s0, s8
	s_addc_u32 s1, s1, s9
	s_load_dwordx2 s[14:15], s[0:1], 0x0
	s_load_dwordx4 s[36:39], s[4:5], 0x58
	s_load_dwordx2 s[12:13], s[4:5], 0x68
	s_lshl_b64 s[0:1], s[2:3], 4
	v_lshlrev_b32_e32 v29, 9, v0
	s_waitcnt lgkmcnt(0)
	s_add_u32 s6, s14, s0
	s_addc_u32 s30, s15, s1
	s_add_u32 s0, s36, s8
	s_addc_u32 s1, s37, s9
	s_load_dwordx2 s[2:3], s[0:1], 0x0
	s_bitcmp1_b32 s24, 0
	s_cselect_b64 s[0:1], -1, 0
	s_lshl_b64 s[8:9], s[38:39], 4
	v_lshlrev_b32_e32 v2, 4, v1
	s_waitcnt lgkmcnt(0)
	s_add_u32 s8, s2, s8
	s_addc_u32 s9, s3, s9
	v_ashrrev_i32_e32 v15, 31, v14
	s_load_dword s24, s[4:5], 0x84
	s_cmp_gt_i32 s25, 0
	v_add_u32_e32 v30, v29, v2
	v_or_b32_e32 v31, 0x4000, v2
	v_lshlrev_b64 v[2:3], 4, v[14:15]
	s_cselect_b64 s[4:5], -1, 0
	v_mov_b32_e32 v4, s9
	v_add_co_u32_e32 v33, vcc, s8, v2
	v_cndmask_b32_e64 v2, 0, 1, s[4:5]
	v_add_u32_e32 v32, v31, v29
	v_cmp_gt_i32_e64 s[2:3], s25, v14
	v_addc_co_u32_e32 v34, vcc, v4, v3, vcc
	v_cmp_ne_u32_e64 s[4:5], 1, v2
	s_branch .LBB51_4
.LBB51_3:                               ;   in Loop: Header=BB51_4 Depth=1
	s_waitcnt lgkmcnt(0)
	s_add_i32 s7, s7, s24
	s_cmp_gt_i32 s7, s27
	s_cbranch_scc1 .LBB51_13
.LBB51_4:                               ; =>This Loop Header: Depth=1
                                        ;     Child Loop BB51_7 Depth 2
	s_and_b64 vcc, exec, s[4:5]
	s_cbranch_vccnz .LBB51_3
; %bb.5:                                ;   in Loop: Header=BB51_4 Depth=1
	v_lshl_add_u32 v4, s7, 5, v1
	v_ashrrev_i32_e32 v5, 31, v4
	v_mul_lo_u32 v6, s10, v5
	v_mul_lo_u32 v7, s11, v4
	v_mad_u64_u32 v[2:3], s[8:9], s10, v4, 0
	v_cmp_gt_i32_e32 vcc, s26, v4
	v_mul_lo_u32 v8, s13, v4
	v_add3_u32 v3, v3, v6, v7
	v_mul_lo_u32 v7, s12, v5
	v_mad_u64_u32 v[4:5], s[8:9], s12, v4, 0
	v_lshlrev_b64 v[2:3], 4, v[2:3]
	v_mov_b32_e32 v6, s30
	v_add_co_u32_e64 v35, s[8:9], s6, v2
	v_add3_u32 v5, v5, v7, v8
	v_addc_co_u32_e64 v36, s[8:9], v6, v3, s[8:9]
	v_lshlrev_b64 v[2:3], 4, v[4:5]
	s_and_b64 s[14:15], s[2:3], vcc
	v_add_co_u32_e64 v15, s[8:9], v33, v2
	v_addc_co_u32_e64 v16, s[8:9], v34, v3, s[8:9]
	s_mov_b32 s31, 0
	s_branch .LBB51_7
.LBB51_6:                               ;   in Loop: Header=BB51_7 Depth=2
	s_or_b64 exec, exec, s[8:9]
	s_add_i32 s31, s31, 32
	s_cmp_ge_i32 s31, s25
	s_waitcnt vmcnt(0) lgkmcnt(0)
	s_barrier
	s_cbranch_scc1 .LBB51_3
.LBB51_7:                               ;   Parent Loop BB51_4 Depth=1
                                        ; =>  This Inner Loop Header: Depth=2
	v_add_u32_e32 v2, s31, v1
	v_cndmask_b32_e64 v3, v2, v14, s[0:1]
	v_cndmask_b32_e64 v4, v14, v2, s[0:1]
	v_cmp_gt_i32_e64 s[8:9], v3, v4
	v_cndmask_b32_e64 v8, v14, v2, s[8:9]
	v_cndmask_b32_e64 v9, v2, v14, s[8:9]
	v_max_i32_e32 v10, v8, v9
	v_mov_b32_e32 v2, 0
	v_mov_b32_e32 v4, 0
	;; [unrolled: 1-line block ×6, first 2 shown]
	v_cmp_gt_i32_e64 s[8:9], s25, v10
	s_and_saveexec_b64 s[16:17], s[8:9]
	s_cbranch_execz .LBB51_9
; %bb.8:                                ;   in Loop: Header=BB51_7 Depth=2
	v_ashrrev_i32_e32 v6, 31, v9
	v_mul_lo_u32 v7, s19, v9
	v_mad_u64_u32 v[4:5], s[8:9], s18, v9, 0
	v_mul_lo_u32 v6, s18, v6
	v_ashrrev_i32_e32 v9, 31, v8
	v_add3_u32 v5, v5, v6, v7
	v_lshlrev_b64 v[4:5], 4, v[4:5]
	v_mov_b32_e32 v6, s29
	v_add_co_u32_e64 v7, s[8:9], s28, v4
	v_addc_co_u32_e64 v6, s[8:9], v6, v5, s[8:9]
	v_lshlrev_b64 v[4:5], 4, v[8:9]
	v_add_co_u32_e64 v4, s[8:9], v7, v4
	v_addc_co_u32_e64 v5, s[8:9], v6, v5, s[8:9]
	flat_load_dwordx4 v[4:7], v[4:5]
.LBB51_9:                               ;   in Loop: Header=BB51_7 Depth=2
	s_or_b64 exec, exec, s[16:17]
	s_waitcnt vmcnt(0) lgkmcnt(0)
	ds_write_b128 v30, v[4:7]
	v_add_u32_e32 v6, s31, v0
	v_cmp_gt_i32_e64 s[8:9], s25, v6
	v_mov_b32_e32 v4, 0
	v_mov_b32_e32 v5, 0
	s_and_b64 s[8:9], s[8:9], vcc
	s_and_saveexec_b64 s[16:17], s[8:9]
	s_cbranch_execz .LBB51_11
; %bb.10:                               ;   in Loop: Header=BB51_7 Depth=2
	v_ashrrev_i32_e32 v7, 31, v6
	v_lshlrev_b64 v[2:3], 4, v[6:7]
	v_add_co_u32_e64 v2, s[8:9], v35, v2
	v_addc_co_u32_e64 v3, s[8:9], v36, v3, s[8:9]
	flat_load_dwordx4 v[2:5], v[2:3]
.LBB51_11:                              ;   in Loop: Header=BB51_7 Depth=2
	s_or_b64 exec, exec, s[16:17]
	s_waitcnt vmcnt(0) lgkmcnt(0)
	ds_write_b128 v32, v[2:5]
	s_waitcnt lgkmcnt(0)
	s_barrier
	s_and_saveexec_b64 s[8:9], s[14:15]
	s_cbranch_execz .LBB51_6
; %bb.12:                               ;   in Loop: Header=BB51_7 Depth=2
	ds_read_b128 v[2:5], v31
	ds_read_b128 v[6:9], v29
	ds_read_b128 v[10:13], v29 offset:16
	ds_read_b128 v[17:20], v31 offset:512
	;; [unrolled: 1-line block ×3, first 2 shown]
	s_waitcnt lgkmcnt(3)
	v_mul_f64 v[25:26], v[4:5], v[8:9]
	v_mul_f64 v[8:9], v[2:3], v[8:9]
	s_waitcnt lgkmcnt(1)
	v_mul_f64 v[37:38], v[19:20], v[12:13]
	v_mul_f64 v[12:13], v[17:18], v[12:13]
	v_fma_f64 v[39:40], v[2:3], v[6:7], -v[25:26]
	v_fma_f64 v[41:42], v[4:5], v[6:7], v[8:9]
	ds_read_b128 v[2:5], v29 offset:32
	ds_read_b128 v[6:9], v29 offset:48
	;; [unrolled: 1-line block ×3, first 2 shown]
	v_fma_f64 v[17:18], v[17:18], v[10:11], -v[37:38]
	v_fma_f64 v[10:11], v[19:20], v[10:11], v[12:13]
	s_waitcnt lgkmcnt(2)
	v_mul_f64 v[12:13], v[23:24], v[4:5]
	v_mul_f64 v[4:5], v[21:22], v[4:5]
	v_add_f64 v[19:20], v[39:40], 0
	v_add_f64 v[37:38], v[41:42], 0
	s_waitcnt lgkmcnt(0)
	v_mul_f64 v[39:40], v[27:28], v[8:9]
	v_mul_f64 v[41:42], v[25:26], v[8:9]
	v_fma_f64 v[12:13], v[21:22], v[2:3], -v[12:13]
	v_fma_f64 v[43:44], v[23:24], v[2:3], v[4:5]
	ds_read_b128 v[2:5], v29 offset:64
	v_add_f64 v[45:46], v[19:20], v[17:18]
	v_add_f64 v[37:38], v[37:38], v[10:11]
	ds_read_b128 v[8:11], v31 offset:2048
	ds_read_b128 v[17:20], v31 offset:2560
	v_fma_f64 v[25:26], v[25:26], v[6:7], -v[39:40]
	v_fma_f64 v[6:7], v[27:28], v[6:7], v[41:42]
	ds_read_b128 v[21:24], v29 offset:80
	s_waitcnt lgkmcnt(2)
	v_mul_f64 v[27:28], v[10:11], v[4:5]
	v_mul_f64 v[4:5], v[8:9], v[4:5]
	v_add_f64 v[12:13], v[45:46], v[12:13]
	v_add_f64 v[37:38], v[37:38], v[43:44]
	v_fma_f64 v[27:28], v[8:9], v[2:3], -v[27:28]
	v_fma_f64 v[41:42], v[10:11], v[2:3], v[4:5]
	ds_read_b128 v[2:5], v29 offset:96
	s_waitcnt lgkmcnt(1)
	v_mul_f64 v[39:40], v[19:20], v[23:24]
	v_mul_f64 v[23:24], v[17:18], v[23:24]
	v_add_f64 v[25:26], v[12:13], v[25:26]
	v_add_f64 v[37:38], v[37:38], v[6:7]
	ds_read_b128 v[6:9], v31 offset:3072
	ds_read_b128 v[10:13], v31 offset:3584
	v_fma_f64 v[39:40], v[17:18], v[21:22], -v[39:40]
	v_fma_f64 v[21:22], v[19:20], v[21:22], v[23:24]
	s_waitcnt lgkmcnt(1)
	v_mul_f64 v[23:24], v[8:9], v[4:5]
	v_mul_f64 v[4:5], v[6:7], v[4:5]
	v_add_f64 v[25:26], v[25:26], v[27:28]
	v_add_f64 v[27:28], v[37:38], v[41:42]
	ds_read_b128 v[17:20], v29 offset:112
	v_fma_f64 v[23:24], v[6:7], v[2:3], -v[23:24]
	v_fma_f64 v[43:44], v[8:9], v[2:3], v[4:5]
	ds_read_b128 v[2:5], v29 offset:128
	s_waitcnt lgkmcnt(1)
	v_mul_f64 v[37:38], v[12:13], v[19:20]
	v_mul_f64 v[41:42], v[10:11], v[19:20]
	v_add_f64 v[25:26], v[25:26], v[39:40]
	v_add_f64 v[27:28], v[27:28], v[21:22]
	ds_read_b128 v[6:9], v31 offset:4096
	ds_read_b128 v[19:22], v31 offset:4608
	s_waitcnt lgkmcnt(1)
	v_mul_f64 v[39:40], v[8:9], v[4:5]
	v_mul_f64 v[4:5], v[6:7], v[4:5]
	v_fma_f64 v[37:38], v[10:11], v[17:18], -v[37:38]
	v_fma_f64 v[17:18], v[12:13], v[17:18], v[41:42]
	ds_read_b128 v[10:13], v29 offset:144
	v_add_f64 v[23:24], v[25:26], v[23:24]
	v_add_f64 v[25:26], v[27:28], v[43:44]
	v_fma_f64 v[39:40], v[6:7], v[2:3], -v[39:40]
	v_fma_f64 v[41:42], v[8:9], v[2:3], v[4:5]
	ds_read_b128 v[2:5], v29 offset:160
	s_waitcnt lgkmcnt(1)
	v_mul_f64 v[27:28], v[21:22], v[12:13]
	v_mul_f64 v[12:13], v[19:20], v[12:13]
	v_add_f64 v[37:38], v[23:24], v[37:38]
	v_add_f64 v[17:18], v[25:26], v[17:18]
	ds_read_b128 v[6:9], v31 offset:5120
	ds_read_b128 v[23:26], v31 offset:5632
	v_fma_f64 v[19:20], v[19:20], v[10:11], -v[27:28]
	s_waitcnt lgkmcnt(1)
	v_mul_f64 v[27:28], v[8:9], v[4:5]
	v_mul_f64 v[4:5], v[6:7], v[4:5]
	v_fma_f64 v[21:22], v[21:22], v[10:11], v[12:13]
	ds_read_b128 v[10:13], v29 offset:176
	v_add_f64 v[37:38], v[37:38], v[39:40]
	v_add_f64 v[17:18], v[17:18], v[41:42]
	v_fma_f64 v[27:28], v[6:7], v[2:3], -v[27:28]
	v_fma_f64 v[41:42], v[8:9], v[2:3], v[4:5]
	ds_read_b128 v[2:5], v29 offset:192
	s_waitcnt lgkmcnt(1)
	v_mul_f64 v[39:40], v[25:26], v[12:13]
	v_mul_f64 v[12:13], v[23:24], v[12:13]
	v_add_f64 v[37:38], v[37:38], v[19:20]
	v_add_f64 v[21:22], v[17:18], v[21:22]
	ds_read_b128 v[6:9], v31 offset:6144
	ds_read_b128 v[17:20], v31 offset:6656
	v_fma_f64 v[23:24], v[23:24], v[10:11], -v[39:40]
	s_waitcnt lgkmcnt(1)
	v_mul_f64 v[39:40], v[8:9], v[4:5]
	v_mul_f64 v[4:5], v[6:7], v[4:5]
	;; [unrolled: 18-line block ×8, first 2 shown]
	v_fma_f64 v[23:24], v[23:24], v[10:11], v[12:13]
	ds_read_b128 v[10:13], v29 offset:400
	v_add_f64 v[27:28], v[27:28], v[37:38]
	v_add_f64 v[25:26], v[25:26], v[41:42]
	v_fma_f64 v[43:44], v[6:7], v[2:3], -v[39:40]
	v_fma_f64 v[45:46], v[8:9], v[2:3], v[4:5]
	ds_read_b128 v[2:5], v29 offset:416
	s_waitcnt lgkmcnt(1)
	v_mul_f64 v[41:42], v[19:20], v[12:13]
	v_mul_f64 v[12:13], v[17:18], v[12:13]
	ds_read_b128 v[6:9], v31 offset:13312
	ds_read_b128 v[37:40], v31 offset:13824
	v_add_f64 v[21:22], v[27:28], v[21:22]
	v_add_f64 v[23:24], v[25:26], v[23:24]
	ds_read_b128 v[25:28], v29 offset:432
	v_fma_f64 v[41:42], v[17:18], v[10:11], -v[41:42]
	v_fma_f64 v[10:11], v[19:20], v[10:11], v[12:13]
	s_waitcnt lgkmcnt(2)
	v_mul_f64 v[12:13], v[8:9], v[4:5]
	v_mul_f64 v[4:5], v[6:7], v[4:5]
	v_add_f64 v[21:22], v[21:22], v[43:44]
	v_add_f64 v[43:44], v[23:24], v[45:46]
	v_fma_f64 v[19:20], v[6:7], v[2:3], -v[12:13]
	v_fma_f64 v[17:18], v[8:9], v[2:3], v[4:5]
	ds_read_b128 v[2:5], v29 offset:448
	s_waitcnt lgkmcnt(1)
	v_mul_f64 v[45:46], v[39:40], v[27:28]
	v_mul_f64 v[47:48], v[37:38], v[27:28]
	v_add_f64 v[23:24], v[21:22], v[41:42]
	v_add_f64 v[21:22], v[43:44], v[10:11]
	ds_read_b128 v[6:9], v31 offset:14336
	ds_read_b128 v[10:13], v31 offset:14848
	;; [unrolled: 1-line block ×3, first 2 shown]
	v_fma_f64 v[27:28], v[37:38], v[25:26], -v[45:46]
	v_fma_f64 v[25:26], v[39:40], v[25:26], v[47:48]
	flat_load_dwordx4 v[37:40], v[15:16]
	v_add_f64 v[19:20], v[23:24], v[19:20]
	s_waitcnt lgkmcnt(0)
	v_mul_f64 v[23:24], v[8:9], v[4:5]
	v_add_f64 v[17:18], v[21:22], v[17:18]
	v_mul_f64 v[4:5], v[6:7], v[4:5]
	v_add_f64 v[27:28], v[19:20], v[27:28]
	v_fma_f64 v[21:22], v[6:7], v[2:3], -v[23:24]
	v_add_f64 v[25:26], v[17:18], v[25:26]
	v_fma_f64 v[23:24], v[8:9], v[2:3], v[4:5]
	ds_read_b128 v[6:9], v29 offset:480
	v_mul_f64 v[45:46], v[12:13], v[43:44]
	v_mul_f64 v[43:44], v[10:11], v[43:44]
	ds_read_b128 v[2:5], v31 offset:15360
	v_add_f64 v[21:22], v[27:28], v[21:22]
	v_add_f64 v[23:24], v[25:26], v[23:24]
	s_waitcnt lgkmcnt(0)
	v_mul_f64 v[27:28], v[4:5], v[8:9]
	v_fma_f64 v[45:46], v[10:11], v[41:42], -v[45:46]
	v_fma_f64 v[41:42], v[12:13], v[41:42], v[43:44]
	v_mul_f64 v[8:9], v[2:3], v[8:9]
	ds_read_b128 v[10:13], v31 offset:15872
	ds_read_b128 v[17:20], v29 offset:496
	v_fma_f64 v[2:3], v[2:3], v[6:7], -v[27:28]
	v_add_f64 v[21:22], v[21:22], v[45:46]
	v_fma_f64 v[4:5], v[4:5], v[6:7], v[8:9]
	s_waitcnt lgkmcnt(0)
	v_mul_f64 v[6:7], v[12:13], v[19:20]
	v_mul_f64 v[8:9], v[10:11], v[19:20]
	v_add_f64 v[19:20], v[23:24], v[41:42]
	v_add_f64 v[2:3], v[21:22], v[2:3]
	v_fma_f64 v[6:7], v[10:11], v[17:18], -v[6:7]
	v_fma_f64 v[8:9], v[12:13], v[17:18], v[8:9]
	v_add_f64 v[4:5], v[19:20], v[4:5]
	v_add_f64 v[2:3], v[2:3], v[6:7]
	;; [unrolled: 1-line block ×3, first 2 shown]
	v_mul_f64 v[8:9], s[22:23], v[2:3]
	v_mul_f64 v[6:7], s[22:23], v[4:5]
	v_fma_f64 v[4:5], s[20:21], v[4:5], v[8:9]
	v_fma_f64 v[2:3], s[20:21], v[2:3], -v[6:7]
	s_waitcnt vmcnt(0)
	v_add_f64 v[2:3], v[37:38], v[2:3]
	v_add_f64 v[4:5], v[39:40], v[4:5]
	flat_store_dwordx4 v[15:16], v[2:5]
	s_branch .LBB51_6
.LBB51_13:
	s_endpgm
	.section	.rodata,"a",@progbits
	.p2align	6, 0x0
	.amdhsa_kernel _ZL24rocblas_symm_hemm_kernelILb0ELb0ELi32EPK19rocblas_complex_numIdEPKS3_PKPS1_EvbiiT2_T3_lllSA_lllT4_llli
		.amdhsa_group_segment_fixed_size 32768
		.amdhsa_private_segment_fixed_size 0
		.amdhsa_kernarg_size 384
		.amdhsa_user_sgpr_count 6
		.amdhsa_user_sgpr_private_segment_buffer 1
		.amdhsa_user_sgpr_dispatch_ptr 0
		.amdhsa_user_sgpr_queue_ptr 0
		.amdhsa_user_sgpr_kernarg_segment_ptr 1
		.amdhsa_user_sgpr_dispatch_id 0
		.amdhsa_user_sgpr_flat_scratch_init 0
		.amdhsa_user_sgpr_private_segment_size 0
		.amdhsa_uses_dynamic_stack 0
		.amdhsa_system_sgpr_private_segment_wavefront_offset 0
		.amdhsa_system_sgpr_workgroup_id_x 1
		.amdhsa_system_sgpr_workgroup_id_y 1
		.amdhsa_system_sgpr_workgroup_id_z 1
		.amdhsa_system_sgpr_workgroup_info 0
		.amdhsa_system_vgpr_workitem_id 1
		.amdhsa_next_free_vgpr 49
		.amdhsa_next_free_sgpr 61
		.amdhsa_reserve_vcc 1
		.amdhsa_reserve_flat_scratch 0
		.amdhsa_float_round_mode_32 0
		.amdhsa_float_round_mode_16_64 0
		.amdhsa_float_denorm_mode_32 3
		.amdhsa_float_denorm_mode_16_64 3
		.amdhsa_dx10_clamp 1
		.amdhsa_ieee_mode 1
		.amdhsa_fp16_overflow 0
		.amdhsa_exception_fp_ieee_invalid_op 0
		.amdhsa_exception_fp_denorm_src 0
		.amdhsa_exception_fp_ieee_div_zero 0
		.amdhsa_exception_fp_ieee_overflow 0
		.amdhsa_exception_fp_ieee_underflow 0
		.amdhsa_exception_fp_ieee_inexact 0
		.amdhsa_exception_int_div_zero 0
	.end_amdhsa_kernel
	.section	.text._ZL24rocblas_symm_hemm_kernelILb0ELb0ELi32EPK19rocblas_complex_numIdEPKS3_PKPS1_EvbiiT2_T3_lllSA_lllT4_llli,"axG",@progbits,_ZL24rocblas_symm_hemm_kernelILb0ELb0ELi32EPK19rocblas_complex_numIdEPKS3_PKPS1_EvbiiT2_T3_lllSA_lllT4_llli,comdat
.Lfunc_end51:
	.size	_ZL24rocblas_symm_hemm_kernelILb0ELb0ELi32EPK19rocblas_complex_numIdEPKS3_PKPS1_EvbiiT2_T3_lllSA_lllT4_llli, .Lfunc_end51-_ZL24rocblas_symm_hemm_kernelILb0ELb0ELi32EPK19rocblas_complex_numIdEPKS3_PKPS1_EvbiiT2_T3_lllSA_lllT4_llli
                                        ; -- End function
	.set _ZL24rocblas_symm_hemm_kernelILb0ELb0ELi32EPK19rocblas_complex_numIdEPKS3_PKPS1_EvbiiT2_T3_lllSA_lllT4_llli.num_vgpr, 49
	.set _ZL24rocblas_symm_hemm_kernelILb0ELb0ELi32EPK19rocblas_complex_numIdEPKS3_PKPS1_EvbiiT2_T3_lllSA_lllT4_llli.num_agpr, 0
	.set _ZL24rocblas_symm_hemm_kernelILb0ELb0ELi32EPK19rocblas_complex_numIdEPKS3_PKPS1_EvbiiT2_T3_lllSA_lllT4_llli.numbered_sgpr, 40
	.set _ZL24rocblas_symm_hemm_kernelILb0ELb0ELi32EPK19rocblas_complex_numIdEPKS3_PKPS1_EvbiiT2_T3_lllSA_lllT4_llli.num_named_barrier, 0
	.set _ZL24rocblas_symm_hemm_kernelILb0ELb0ELi32EPK19rocblas_complex_numIdEPKS3_PKPS1_EvbiiT2_T3_lllSA_lllT4_llli.private_seg_size, 0
	.set _ZL24rocblas_symm_hemm_kernelILb0ELb0ELi32EPK19rocblas_complex_numIdEPKS3_PKPS1_EvbiiT2_T3_lllSA_lllT4_llli.uses_vcc, 1
	.set _ZL24rocblas_symm_hemm_kernelILb0ELb0ELi32EPK19rocblas_complex_numIdEPKS3_PKPS1_EvbiiT2_T3_lllSA_lllT4_llli.uses_flat_scratch, 0
	.set _ZL24rocblas_symm_hemm_kernelILb0ELb0ELi32EPK19rocblas_complex_numIdEPKS3_PKPS1_EvbiiT2_T3_lllSA_lllT4_llli.has_dyn_sized_stack, 0
	.set _ZL24rocblas_symm_hemm_kernelILb0ELb0ELi32EPK19rocblas_complex_numIdEPKS3_PKPS1_EvbiiT2_T3_lllSA_lllT4_llli.has_recursion, 0
	.set _ZL24rocblas_symm_hemm_kernelILb0ELb0ELi32EPK19rocblas_complex_numIdEPKS3_PKPS1_EvbiiT2_T3_lllSA_lllT4_llli.has_indirect_call, 0
	.section	.AMDGPU.csdata,"",@progbits
; Kernel info:
; codeLenInByte = 3080
; TotalNumSgprs: 44
; NumVgprs: 49
; ScratchSize: 0
; MemoryBound: 1
; FloatMode: 240
; IeeeMode: 1
; LDSByteSize: 32768 bytes/workgroup (compile time only)
; SGPRBlocks: 8
; VGPRBlocks: 12
; NumSGPRsForWavesPerEU: 65
; NumVGPRsForWavesPerEU: 49
; Occupancy: 4
; WaveLimiterHint : 1
; COMPUTE_PGM_RSRC2:SCRATCH_EN: 0
; COMPUTE_PGM_RSRC2:USER_SGPR: 6
; COMPUTE_PGM_RSRC2:TRAP_HANDLER: 0
; COMPUTE_PGM_RSRC2:TGID_X_EN: 1
; COMPUTE_PGM_RSRC2:TGID_Y_EN: 1
; COMPUTE_PGM_RSRC2:TGID_Z_EN: 1
; COMPUTE_PGM_RSRC2:TIDIG_COMP_CNT: 1
	.section	.text._ZL24rocblas_symm_hemm_kernelILb0ELb1ELi32EPK19rocblas_complex_numIdEPKS3_PKPS1_EvbiiT2_T3_lllSA_lllT4_llli,"axG",@progbits,_ZL24rocblas_symm_hemm_kernelILb0ELb1ELi32EPK19rocblas_complex_numIdEPKS3_PKPS1_EvbiiT2_T3_lllSA_lllT4_llli,comdat
	.globl	_ZL24rocblas_symm_hemm_kernelILb0ELb1ELi32EPK19rocblas_complex_numIdEPKS3_PKPS1_EvbiiT2_T3_lllSA_lllT4_llli ; -- Begin function _ZL24rocblas_symm_hemm_kernelILb0ELb1ELi32EPK19rocblas_complex_numIdEPKS3_PKPS1_EvbiiT2_T3_lllSA_lllT4_llli
	.p2align	8
	.type	_ZL24rocblas_symm_hemm_kernelILb0ELb1ELi32EPK19rocblas_complex_numIdEPKS3_PKPS1_EvbiiT2_T3_lllSA_lllT4_llli,@function
_ZL24rocblas_symm_hemm_kernelILb0ELb1ELi32EPK19rocblas_complex_numIdEPKS3_PKPS1_EvbiiT2_T3_lllSA_lllT4_llli: ; @_ZL24rocblas_symm_hemm_kernelILb0ELb1ELi32EPK19rocblas_complex_numIdEPKS3_PKPS1_EvbiiT2_T3_lllSA_lllT4_llli
; %bb.0:
	s_load_dwordx8 s[12:19], s[4:5], 0x10
	s_waitcnt lgkmcnt(0)
	s_load_dwordx4 s[20:23], s[12:13], 0x0
	s_waitcnt lgkmcnt(0)
	v_cmp_eq_f64_e64 s[0:1], s[20:21], 0
	v_cmp_eq_f64_e64 s[2:3], s[22:23], 0
	s_and_b64 s[0:1], s[0:1], s[2:3]
	s_and_b64 vcc, exec, s[0:1]
	s_cbranch_vccnz .LBB52_13
; %bb.1:
	s_load_dwordx4 s[24:27], s[4:5], 0x0
	s_waitcnt lgkmcnt(0)
	s_add_i32 s0, s26, -1
	s_ashr_i32 s1, s0, 31
	s_lshr_b32 s1, s1, 27
	s_add_i32 s0, s0, s1
	s_ashr_i32 s27, s0, 5
	s_cmp_gt_i32 s7, s27
	s_cbranch_scc1 .LBB52_13
; %bb.2:
	s_mov_b32 s9, 0
	s_lshl_b64 s[28:29], s[8:9], 3
	s_add_u32 s30, s14, s28
	s_addc_u32 s31, s15, s29
	s_load_dwordx2 s[34:35], s[30:31], 0x0
	s_load_dwordx4 s[0:3], s[4:5], 0x38
	s_load_dwordx2 s[8:9], s[4:5], 0x48
	s_load_dwordx4 s[12:15], s[4:5], 0x58
	s_load_dwordx2 s[10:11], s[4:5], 0x68
	s_lshl_b64 s[16:17], s[16:17], 4
	s_waitcnt lgkmcnt(0)
	s_add_u32 s16, s34, s16
	s_addc_u32 s17, s35, s17
	s_add_u32 s0, s0, s28
	s_addc_u32 s1, s1, s29
	;; [unrolled: 2-line block ×3, first 2 shown]
	s_load_dwordx2 s[28:29], s[12:13], 0x0
	s_load_dwordx2 s[30:31], s[0:1], 0x0
	s_bitcmp1_b32 s24, 0
	s_cselect_b64 s[0:1], -1, 0
	s_lshl_b64 s[12:13], s[14:15], 4
	s_waitcnt lgkmcnt(0)
	s_add_u32 s12, s28, s12
	s_addc_u32 s13, s29, s13
	s_lshl_b64 s[2:3], s[2:3], 4
	v_lshl_add_u32 v2, s6, 5, v0
	s_add_u32 s14, s30, s2
	v_ashrrev_i32_e32 v3, 31, v2
	s_addc_u32 s15, s31, s3
	v_cmp_gt_i32_e64 s[2:3], s25, v2
	v_lshlrev_b64 v[2:3], 4, v[2:3]
	s_load_dword s6, s[4:5], 0x84
	s_cmp_gt_i32 s26, 0
	v_mov_b32_e32 v4, s15
	v_add_co_u32_e32 v28, vcc, s14, v2
	v_addc_co_u32_e32 v29, vcc, v4, v3, vcc
	v_lshlrev_b32_e32 v30, 9, v0
	v_lshlrev_b32_e32 v4, 4, v1
	s_cselect_b64 s[4:5], -1, 0
	v_add_u32_e32 v31, v30, v4
	v_or_b32_e32 v32, 0x4000, v4
	v_mov_b32_e32 v4, s13
	v_add_co_u32_e32 v34, vcc, s12, v2
	v_cndmask_b32_e64 v2, 0, 1, s[4:5]
	v_add_u32_e32 v33, v32, v30
	v_addc_co_u32_e32 v35, vcc, v4, v3, vcc
	v_cmp_ne_u32_e64 s[4:5], 1, v2
	s_branch .LBB52_4
.LBB52_3:                               ;   in Loop: Header=BB52_4 Depth=1
	s_waitcnt lgkmcnt(0)
	s_add_i32 s7, s7, s6
	s_cmp_gt_i32 s7, s27
	s_cbranch_scc1 .LBB52_13
.LBB52_4:                               ; =>This Loop Header: Depth=1
                                        ;     Child Loop BB52_7 Depth 2
	s_and_b64 vcc, exec, s[4:5]
	s_cbranch_vccnz .LBB52_3
; %bb.5:                                ;   in Loop: Header=BB52_4 Depth=1
	v_lshl_add_u32 v36, s7, 5, v1
	v_ashrrev_i32_e32 v2, 31, v36
	v_mul_lo_u32 v4, s10, v2
	v_mul_lo_u32 v5, s11, v36
	v_mad_u64_u32 v[2:3], s[12:13], s10, v36, 0
	v_cmp_gt_i32_e32 vcc, s26, v36
	s_and_b64 s[12:13], s[2:3], vcc
	v_add3_u32 v3, v3, v4, v5
	v_lshlrev_b64 v[2:3], 4, v[2:3]
	s_mov_b32 s24, 0
	v_add_co_u32_e32 v14, vcc, v34, v2
	v_addc_co_u32_e32 v15, vcc, v35, v3, vcc
	s_branch .LBB52_7
.LBB52_6:                               ;   in Loop: Header=BB52_7 Depth=2
	s_or_b64 exec, exec, s[14:15]
	s_add_i32 s24, s24, 32
	s_cmp_ge_i32 s24, s26
	s_waitcnt vmcnt(0) lgkmcnt(0)
	s_barrier
	s_cbranch_scc1 .LBB52_3
.LBB52_7:                               ;   Parent Loop BB52_4 Depth=1
                                        ; =>  This Inner Loop Header: Depth=2
	v_add_u32_e32 v8, s24, v1
	v_cmp_gt_i32_e32 vcc, s26, v8
	v_mov_b32_e32 v2, 0
	v_mov_b32_e32 v4, 0
	;; [unrolled: 1-line block ×6, first 2 shown]
	s_and_b64 s[28:29], s[2:3], vcc
	s_and_saveexec_b64 s[14:15], s[28:29]
	s_cbranch_execz .LBB52_9
; %bb.8:                                ;   in Loop: Header=BB52_7 Depth=2
	v_ashrrev_i32_e32 v6, 31, v8
	v_mul_lo_u32 v7, s9, v8
	v_mad_u64_u32 v[4:5], s[28:29], s8, v8, 0
	v_mul_lo_u32 v6, s8, v6
	v_add3_u32 v5, v5, v6, v7
	v_lshlrev_b64 v[4:5], 4, v[4:5]
	v_add_co_u32_e32 v4, vcc, v28, v4
	v_addc_co_u32_e32 v5, vcc, v29, v5, vcc
	flat_load_dwordx4 v[4:7], v[4:5]
.LBB52_9:                               ;   in Loop: Header=BB52_7 Depth=2
	s_or_b64 exec, exec, s[14:15]
	s_waitcnt vmcnt(0) lgkmcnt(0)
	ds_write_b128 v31, v[4:7]
	v_add_u32_e32 v4, s24, v0
	v_cndmask_b32_e64 v5, v36, v4, s[0:1]
	v_cndmask_b32_e64 v6, v4, v36, s[0:1]
	v_cmp_gt_i32_e32 vcc, v5, v6
	v_cndmask_b32_e32 v6, v4, v36, vcc
	v_cndmask_b32_e32 v7, v36, v4, vcc
	v_max_i32_e32 v8, v6, v7
	v_mov_b32_e32 v4, 0
	v_mov_b32_e32 v5, 0
	v_cmp_gt_i32_e32 vcc, s26, v8
	s_and_saveexec_b64 s[14:15], vcc
	s_cbranch_execz .LBB52_11
; %bb.10:                               ;   in Loop: Header=BB52_7 Depth=2
	v_ashrrev_i32_e32 v4, 31, v7
	v_mul_lo_u32 v5, s19, v7
	v_mad_u64_u32 v[2:3], s[28:29], s18, v7, 0
	v_mul_lo_u32 v4, s18, v4
	v_ashrrev_i32_e32 v7, 31, v6
	v_add3_u32 v3, v3, v4, v5
	v_lshlrev_b64 v[2:3], 4, v[2:3]
	v_mov_b32_e32 v4, s17
	v_add_co_u32_e32 v5, vcc, s16, v2
	v_addc_co_u32_e32 v4, vcc, v4, v3, vcc
	v_lshlrev_b64 v[2:3], 4, v[6:7]
	v_add_co_u32_e32 v2, vcc, v5, v2
	v_addc_co_u32_e32 v3, vcc, v4, v3, vcc
	flat_load_dwordx4 v[2:5], v[2:3]
.LBB52_11:                              ;   in Loop: Header=BB52_7 Depth=2
	s_or_b64 exec, exec, s[14:15]
	s_waitcnt vmcnt(0) lgkmcnt(0)
	ds_write_b128 v33, v[2:5]
	s_waitcnt lgkmcnt(0)
	s_barrier
	s_and_saveexec_b64 s[14:15], s[12:13]
	s_cbranch_execz .LBB52_6
; %bb.12:                               ;   in Loop: Header=BB52_7 Depth=2
	ds_read_b128 v[2:5], v32
	ds_read_b128 v[6:9], v30
	ds_read_b128 v[10:13], v30 offset:16
	ds_read_b128 v[16:19], v32 offset:512
	;; [unrolled: 1-line block ×3, first 2 shown]
	s_waitcnt lgkmcnt(3)
	v_mul_f64 v[24:25], v[4:5], v[8:9]
	v_mul_f64 v[8:9], v[2:3], v[8:9]
	s_waitcnt lgkmcnt(1)
	v_mul_f64 v[37:38], v[18:19], v[12:13]
	v_mul_f64 v[12:13], v[16:17], v[12:13]
	v_fma_f64 v[39:40], v[2:3], v[6:7], -v[24:25]
	v_fma_f64 v[41:42], v[4:5], v[6:7], v[8:9]
	ds_read_b128 v[2:5], v30 offset:32
	ds_read_b128 v[6:9], v30 offset:48
	;; [unrolled: 1-line block ×3, first 2 shown]
	v_fma_f64 v[16:17], v[16:17], v[10:11], -v[37:38]
	v_fma_f64 v[10:11], v[18:19], v[10:11], v[12:13]
	s_waitcnt lgkmcnt(2)
	v_mul_f64 v[12:13], v[22:23], v[4:5]
	v_mul_f64 v[4:5], v[20:21], v[4:5]
	v_add_f64 v[18:19], v[39:40], 0
	v_add_f64 v[37:38], v[41:42], 0
	s_waitcnt lgkmcnt(0)
	v_mul_f64 v[39:40], v[26:27], v[8:9]
	v_mul_f64 v[41:42], v[24:25], v[8:9]
	v_fma_f64 v[12:13], v[20:21], v[2:3], -v[12:13]
	v_fma_f64 v[43:44], v[22:23], v[2:3], v[4:5]
	ds_read_b128 v[2:5], v30 offset:64
	v_add_f64 v[45:46], v[18:19], v[16:17]
	v_add_f64 v[37:38], v[37:38], v[10:11]
	ds_read_b128 v[8:11], v32 offset:2048
	ds_read_b128 v[16:19], v32 offset:2560
	v_fma_f64 v[24:25], v[24:25], v[6:7], -v[39:40]
	v_fma_f64 v[6:7], v[26:27], v[6:7], v[41:42]
	ds_read_b128 v[20:23], v30 offset:80
	s_waitcnt lgkmcnt(2)
	v_mul_f64 v[26:27], v[10:11], v[4:5]
	v_mul_f64 v[4:5], v[8:9], v[4:5]
	v_add_f64 v[12:13], v[45:46], v[12:13]
	v_add_f64 v[37:38], v[37:38], v[43:44]
	v_fma_f64 v[26:27], v[8:9], v[2:3], -v[26:27]
	v_fma_f64 v[41:42], v[10:11], v[2:3], v[4:5]
	ds_read_b128 v[2:5], v30 offset:96
	s_waitcnt lgkmcnt(1)
	v_mul_f64 v[39:40], v[18:19], v[22:23]
	v_mul_f64 v[22:23], v[16:17], v[22:23]
	v_add_f64 v[24:25], v[12:13], v[24:25]
	v_add_f64 v[37:38], v[37:38], v[6:7]
	ds_read_b128 v[6:9], v32 offset:3072
	ds_read_b128 v[10:13], v32 offset:3584
	v_fma_f64 v[39:40], v[16:17], v[20:21], -v[39:40]
	v_fma_f64 v[20:21], v[18:19], v[20:21], v[22:23]
	s_waitcnt lgkmcnt(1)
	v_mul_f64 v[22:23], v[8:9], v[4:5]
	v_mul_f64 v[4:5], v[6:7], v[4:5]
	v_add_f64 v[24:25], v[24:25], v[26:27]
	v_add_f64 v[26:27], v[37:38], v[41:42]
	ds_read_b128 v[16:19], v30 offset:112
	v_fma_f64 v[22:23], v[6:7], v[2:3], -v[22:23]
	v_fma_f64 v[43:44], v[8:9], v[2:3], v[4:5]
	ds_read_b128 v[2:5], v30 offset:128
	s_waitcnt lgkmcnt(1)
	v_mul_f64 v[37:38], v[12:13], v[18:19]
	v_mul_f64 v[41:42], v[10:11], v[18:19]
	v_add_f64 v[24:25], v[24:25], v[39:40]
	v_add_f64 v[26:27], v[26:27], v[20:21]
	ds_read_b128 v[6:9], v32 offset:4096
	ds_read_b128 v[18:21], v32 offset:4608
	s_waitcnt lgkmcnt(1)
	v_mul_f64 v[39:40], v[8:9], v[4:5]
	v_mul_f64 v[4:5], v[6:7], v[4:5]
	v_fma_f64 v[37:38], v[10:11], v[16:17], -v[37:38]
	v_fma_f64 v[16:17], v[12:13], v[16:17], v[41:42]
	ds_read_b128 v[10:13], v30 offset:144
	v_add_f64 v[22:23], v[24:25], v[22:23]
	v_add_f64 v[24:25], v[26:27], v[43:44]
	v_fma_f64 v[39:40], v[6:7], v[2:3], -v[39:40]
	v_fma_f64 v[41:42], v[8:9], v[2:3], v[4:5]
	ds_read_b128 v[2:5], v30 offset:160
	s_waitcnt lgkmcnt(1)
	v_mul_f64 v[26:27], v[20:21], v[12:13]
	v_mul_f64 v[12:13], v[18:19], v[12:13]
	v_add_f64 v[37:38], v[22:23], v[37:38]
	v_add_f64 v[16:17], v[24:25], v[16:17]
	ds_read_b128 v[6:9], v32 offset:5120
	ds_read_b128 v[22:25], v32 offset:5632
	v_fma_f64 v[18:19], v[18:19], v[10:11], -v[26:27]
	s_waitcnt lgkmcnt(1)
	v_mul_f64 v[26:27], v[8:9], v[4:5]
	v_mul_f64 v[4:5], v[6:7], v[4:5]
	v_fma_f64 v[20:21], v[20:21], v[10:11], v[12:13]
	ds_read_b128 v[10:13], v30 offset:176
	v_add_f64 v[37:38], v[37:38], v[39:40]
	v_add_f64 v[16:17], v[16:17], v[41:42]
	v_fma_f64 v[26:27], v[6:7], v[2:3], -v[26:27]
	v_fma_f64 v[41:42], v[8:9], v[2:3], v[4:5]
	ds_read_b128 v[2:5], v30 offset:192
	s_waitcnt lgkmcnt(1)
	v_mul_f64 v[39:40], v[24:25], v[12:13]
	v_mul_f64 v[12:13], v[22:23], v[12:13]
	v_add_f64 v[37:38], v[37:38], v[18:19]
	v_add_f64 v[20:21], v[16:17], v[20:21]
	ds_read_b128 v[6:9], v32 offset:6144
	ds_read_b128 v[16:19], v32 offset:6656
	v_fma_f64 v[22:23], v[22:23], v[10:11], -v[39:40]
	s_waitcnt lgkmcnt(1)
	v_mul_f64 v[39:40], v[8:9], v[4:5]
	v_mul_f64 v[4:5], v[6:7], v[4:5]
	v_fma_f64 v[24:25], v[24:25], v[10:11], v[12:13]
	ds_read_b128 v[10:13], v30 offset:208
	v_add_f64 v[26:27], v[37:38], v[26:27]
	v_add_f64 v[20:21], v[20:21], v[41:42]
	v_fma_f64 v[39:40], v[6:7], v[2:3], -v[39:40]
	v_fma_f64 v[41:42], v[8:9], v[2:3], v[4:5]
	ds_read_b128 v[2:5], v30 offset:224
	s_waitcnt lgkmcnt(1)
	v_mul_f64 v[37:38], v[18:19], v[12:13]
	v_mul_f64 v[12:13], v[16:17], v[12:13]
	v_add_f64 v[26:27], v[26:27], v[22:23]
	v_add_f64 v[24:25], v[20:21], v[24:25]
	ds_read_b128 v[6:9], v32 offset:7168
	ds_read_b128 v[20:23], v32 offset:7680
	v_fma_f64 v[16:17], v[16:17], v[10:11], -v[37:38]
	s_waitcnt lgkmcnt(1)
	v_mul_f64 v[37:38], v[8:9], v[4:5]
	v_mul_f64 v[4:5], v[6:7], v[4:5]
	v_fma_f64 v[18:19], v[18:19], v[10:11], v[12:13]
	ds_read_b128 v[10:13], v30 offset:240
	v_add_f64 v[26:27], v[26:27], v[39:40]
	v_add_f64 v[24:25], v[24:25], v[41:42]
	v_fma_f64 v[37:38], v[6:7], v[2:3], -v[37:38]
	v_fma_f64 v[41:42], v[8:9], v[2:3], v[4:5]
	ds_read_b128 v[2:5], v30 offset:256
	s_waitcnt lgkmcnt(1)
	v_mul_f64 v[39:40], v[22:23], v[12:13]
	v_mul_f64 v[12:13], v[20:21], v[12:13]
	v_add_f64 v[26:27], v[26:27], v[16:17]
	v_add_f64 v[24:25], v[24:25], v[18:19]
	ds_read_b128 v[6:9], v32 offset:8192
	ds_read_b128 v[16:19], v32 offset:8704
	v_fma_f64 v[20:21], v[20:21], v[10:11], -v[39:40]
	s_waitcnt lgkmcnt(1)
	v_mul_f64 v[39:40], v[8:9], v[4:5]
	v_mul_f64 v[4:5], v[6:7], v[4:5]
	v_fma_f64 v[22:23], v[22:23], v[10:11], v[12:13]
	ds_read_b128 v[10:13], v30 offset:272
	v_add_f64 v[26:27], v[26:27], v[37:38]
	v_add_f64 v[24:25], v[24:25], v[41:42]
	v_fma_f64 v[39:40], v[6:7], v[2:3], -v[39:40]
	v_fma_f64 v[41:42], v[8:9], v[2:3], v[4:5]
	ds_read_b128 v[2:5], v30 offset:288
	s_waitcnt lgkmcnt(1)
	v_mul_f64 v[37:38], v[18:19], v[12:13]
	v_mul_f64 v[12:13], v[16:17], v[12:13]
	v_add_f64 v[26:27], v[26:27], v[20:21]
	v_add_f64 v[24:25], v[24:25], v[22:23]
	ds_read_b128 v[6:9], v32 offset:9216
	ds_read_b128 v[20:23], v32 offset:9728
	v_fma_f64 v[16:17], v[16:17], v[10:11], -v[37:38]
	s_waitcnt lgkmcnt(1)
	v_mul_f64 v[37:38], v[8:9], v[4:5]
	v_mul_f64 v[4:5], v[6:7], v[4:5]
	v_fma_f64 v[18:19], v[18:19], v[10:11], v[12:13]
	ds_read_b128 v[10:13], v30 offset:304
	v_add_f64 v[26:27], v[26:27], v[39:40]
	v_add_f64 v[24:25], v[24:25], v[41:42]
	v_fma_f64 v[37:38], v[6:7], v[2:3], -v[37:38]
	v_fma_f64 v[41:42], v[8:9], v[2:3], v[4:5]
	ds_read_b128 v[2:5], v30 offset:320
	s_waitcnt lgkmcnt(1)
	v_mul_f64 v[39:40], v[22:23], v[12:13]
	v_mul_f64 v[12:13], v[20:21], v[12:13]
	v_add_f64 v[26:27], v[26:27], v[16:17]
	v_add_f64 v[24:25], v[24:25], v[18:19]
	ds_read_b128 v[6:9], v32 offset:10240
	ds_read_b128 v[16:19], v32 offset:10752
	v_fma_f64 v[20:21], v[20:21], v[10:11], -v[39:40]
	s_waitcnt lgkmcnt(1)
	v_mul_f64 v[39:40], v[8:9], v[4:5]
	v_mul_f64 v[4:5], v[6:7], v[4:5]
	v_fma_f64 v[22:23], v[22:23], v[10:11], v[12:13]
	ds_read_b128 v[10:13], v30 offset:336
	v_add_f64 v[26:27], v[26:27], v[37:38]
	v_add_f64 v[24:25], v[24:25], v[41:42]
	v_fma_f64 v[39:40], v[6:7], v[2:3], -v[39:40]
	v_fma_f64 v[41:42], v[8:9], v[2:3], v[4:5]
	ds_read_b128 v[2:5], v30 offset:352
	s_waitcnt lgkmcnt(1)
	v_mul_f64 v[37:38], v[18:19], v[12:13]
	v_mul_f64 v[12:13], v[16:17], v[12:13]
	v_add_f64 v[26:27], v[26:27], v[20:21]
	v_add_f64 v[24:25], v[24:25], v[22:23]
	ds_read_b128 v[6:9], v32 offset:11264
	ds_read_b128 v[20:23], v32 offset:11776
	v_fma_f64 v[16:17], v[16:17], v[10:11], -v[37:38]
	s_waitcnt lgkmcnt(1)
	v_mul_f64 v[37:38], v[8:9], v[4:5]
	v_mul_f64 v[4:5], v[6:7], v[4:5]
	v_fma_f64 v[18:19], v[18:19], v[10:11], v[12:13]
	ds_read_b128 v[10:13], v30 offset:368
	v_add_f64 v[26:27], v[26:27], v[39:40]
	v_add_f64 v[24:25], v[24:25], v[41:42]
	v_fma_f64 v[37:38], v[6:7], v[2:3], -v[37:38]
	v_fma_f64 v[41:42], v[8:9], v[2:3], v[4:5]
	ds_read_b128 v[2:5], v30 offset:384
	s_waitcnt lgkmcnt(1)
	v_mul_f64 v[39:40], v[22:23], v[12:13]
	v_mul_f64 v[12:13], v[20:21], v[12:13]
	v_add_f64 v[26:27], v[26:27], v[16:17]
	v_add_f64 v[24:25], v[24:25], v[18:19]
	ds_read_b128 v[6:9], v32 offset:12288
	ds_read_b128 v[16:19], v32 offset:12800
	v_fma_f64 v[20:21], v[20:21], v[10:11], -v[39:40]
	s_waitcnt lgkmcnt(1)
	v_mul_f64 v[39:40], v[8:9], v[4:5]
	v_mul_f64 v[4:5], v[6:7], v[4:5]
	v_fma_f64 v[22:23], v[22:23], v[10:11], v[12:13]
	ds_read_b128 v[10:13], v30 offset:400
	v_add_f64 v[26:27], v[26:27], v[37:38]
	v_add_f64 v[24:25], v[24:25], v[41:42]
	v_fma_f64 v[43:44], v[6:7], v[2:3], -v[39:40]
	v_fma_f64 v[45:46], v[8:9], v[2:3], v[4:5]
	ds_read_b128 v[2:5], v30 offset:416
	s_waitcnt lgkmcnt(1)
	v_mul_f64 v[41:42], v[18:19], v[12:13]
	v_mul_f64 v[12:13], v[16:17], v[12:13]
	ds_read_b128 v[6:9], v32 offset:13312
	ds_read_b128 v[37:40], v32 offset:13824
	v_add_f64 v[20:21], v[26:27], v[20:21]
	v_add_f64 v[22:23], v[24:25], v[22:23]
	ds_read_b128 v[24:27], v30 offset:432
	v_fma_f64 v[41:42], v[16:17], v[10:11], -v[41:42]
	v_fma_f64 v[10:11], v[18:19], v[10:11], v[12:13]
	s_waitcnt lgkmcnt(2)
	v_mul_f64 v[12:13], v[8:9], v[4:5]
	v_mul_f64 v[4:5], v[6:7], v[4:5]
	v_add_f64 v[20:21], v[20:21], v[43:44]
	v_add_f64 v[43:44], v[22:23], v[45:46]
	v_fma_f64 v[18:19], v[6:7], v[2:3], -v[12:13]
	v_fma_f64 v[16:17], v[8:9], v[2:3], v[4:5]
	ds_read_b128 v[2:5], v30 offset:448
	s_waitcnt lgkmcnt(1)
	v_mul_f64 v[45:46], v[39:40], v[26:27]
	v_mul_f64 v[47:48], v[37:38], v[26:27]
	v_add_f64 v[22:23], v[20:21], v[41:42]
	v_add_f64 v[20:21], v[43:44], v[10:11]
	ds_read_b128 v[6:9], v32 offset:14336
	ds_read_b128 v[10:13], v32 offset:14848
	;; [unrolled: 1-line block ×3, first 2 shown]
	v_fma_f64 v[26:27], v[37:38], v[24:25], -v[45:46]
	v_fma_f64 v[24:25], v[39:40], v[24:25], v[47:48]
	flat_load_dwordx4 v[37:40], v[14:15]
	v_add_f64 v[18:19], v[22:23], v[18:19]
	s_waitcnt lgkmcnt(0)
	v_mul_f64 v[22:23], v[8:9], v[4:5]
	v_add_f64 v[16:17], v[20:21], v[16:17]
	v_mul_f64 v[4:5], v[6:7], v[4:5]
	v_add_f64 v[26:27], v[18:19], v[26:27]
	v_fma_f64 v[20:21], v[6:7], v[2:3], -v[22:23]
	v_add_f64 v[24:25], v[16:17], v[24:25]
	v_fma_f64 v[22:23], v[8:9], v[2:3], v[4:5]
	ds_read_b128 v[6:9], v30 offset:480
	v_mul_f64 v[45:46], v[12:13], v[43:44]
	v_mul_f64 v[43:44], v[10:11], v[43:44]
	ds_read_b128 v[2:5], v32 offset:15360
	v_add_f64 v[20:21], v[26:27], v[20:21]
	v_add_f64 v[22:23], v[24:25], v[22:23]
	s_waitcnt lgkmcnt(0)
	v_mul_f64 v[26:27], v[4:5], v[8:9]
	v_fma_f64 v[45:46], v[10:11], v[41:42], -v[45:46]
	v_fma_f64 v[41:42], v[12:13], v[41:42], v[43:44]
	v_mul_f64 v[8:9], v[2:3], v[8:9]
	ds_read_b128 v[10:13], v32 offset:15872
	ds_read_b128 v[16:19], v30 offset:496
	v_fma_f64 v[2:3], v[2:3], v[6:7], -v[26:27]
	v_add_f64 v[20:21], v[20:21], v[45:46]
	v_fma_f64 v[4:5], v[4:5], v[6:7], v[8:9]
	s_waitcnt lgkmcnt(0)
	v_mul_f64 v[6:7], v[12:13], v[18:19]
	v_mul_f64 v[8:9], v[10:11], v[18:19]
	v_add_f64 v[18:19], v[22:23], v[41:42]
	v_add_f64 v[2:3], v[20:21], v[2:3]
	v_fma_f64 v[6:7], v[10:11], v[16:17], -v[6:7]
	v_fma_f64 v[8:9], v[12:13], v[16:17], v[8:9]
	v_add_f64 v[4:5], v[18:19], v[4:5]
	v_add_f64 v[2:3], v[2:3], v[6:7]
	;; [unrolled: 1-line block ×3, first 2 shown]
	v_mul_f64 v[8:9], s[22:23], v[2:3]
	v_mul_f64 v[6:7], s[22:23], v[4:5]
	v_fma_f64 v[4:5], s[20:21], v[4:5], v[8:9]
	v_fma_f64 v[2:3], s[20:21], v[2:3], -v[6:7]
	s_waitcnt vmcnt(0)
	v_add_f64 v[2:3], v[37:38], v[2:3]
	v_add_f64 v[4:5], v[39:40], v[4:5]
	flat_store_dwordx4 v[14:15], v[2:5]
	s_branch .LBB52_6
.LBB52_13:
	s_endpgm
	.section	.rodata,"a",@progbits
	.p2align	6, 0x0
	.amdhsa_kernel _ZL24rocblas_symm_hemm_kernelILb0ELb1ELi32EPK19rocblas_complex_numIdEPKS3_PKPS1_EvbiiT2_T3_lllSA_lllT4_llli
		.amdhsa_group_segment_fixed_size 32768
		.amdhsa_private_segment_fixed_size 0
		.amdhsa_kernarg_size 384
		.amdhsa_user_sgpr_count 6
		.amdhsa_user_sgpr_private_segment_buffer 1
		.amdhsa_user_sgpr_dispatch_ptr 0
		.amdhsa_user_sgpr_queue_ptr 0
		.amdhsa_user_sgpr_kernarg_segment_ptr 1
		.amdhsa_user_sgpr_dispatch_id 0
		.amdhsa_user_sgpr_flat_scratch_init 0
		.amdhsa_user_sgpr_private_segment_size 0
		.amdhsa_uses_dynamic_stack 0
		.amdhsa_system_sgpr_private_segment_wavefront_offset 0
		.amdhsa_system_sgpr_workgroup_id_x 1
		.amdhsa_system_sgpr_workgroup_id_y 1
		.amdhsa_system_sgpr_workgroup_id_z 1
		.amdhsa_system_sgpr_workgroup_info 0
		.amdhsa_system_vgpr_workitem_id 1
		.amdhsa_next_free_vgpr 49
		.amdhsa_next_free_sgpr 61
		.amdhsa_reserve_vcc 1
		.amdhsa_reserve_flat_scratch 0
		.amdhsa_float_round_mode_32 0
		.amdhsa_float_round_mode_16_64 0
		.amdhsa_float_denorm_mode_32 3
		.amdhsa_float_denorm_mode_16_64 3
		.amdhsa_dx10_clamp 1
		.amdhsa_ieee_mode 1
		.amdhsa_fp16_overflow 0
		.amdhsa_exception_fp_ieee_invalid_op 0
		.amdhsa_exception_fp_denorm_src 0
		.amdhsa_exception_fp_ieee_div_zero 0
		.amdhsa_exception_fp_ieee_overflow 0
		.amdhsa_exception_fp_ieee_underflow 0
		.amdhsa_exception_fp_ieee_inexact 0
		.amdhsa_exception_int_div_zero 0
	.end_amdhsa_kernel
	.section	.text._ZL24rocblas_symm_hemm_kernelILb0ELb1ELi32EPK19rocblas_complex_numIdEPKS3_PKPS1_EvbiiT2_T3_lllSA_lllT4_llli,"axG",@progbits,_ZL24rocblas_symm_hemm_kernelILb0ELb1ELi32EPK19rocblas_complex_numIdEPKS3_PKPS1_EvbiiT2_T3_lllSA_lllT4_llli,comdat
.Lfunc_end52:
	.size	_ZL24rocblas_symm_hemm_kernelILb0ELb1ELi32EPK19rocblas_complex_numIdEPKS3_PKPS1_EvbiiT2_T3_lllSA_lllT4_llli, .Lfunc_end52-_ZL24rocblas_symm_hemm_kernelILb0ELb1ELi32EPK19rocblas_complex_numIdEPKS3_PKPS1_EvbiiT2_T3_lllSA_lllT4_llli
                                        ; -- End function
	.set _ZL24rocblas_symm_hemm_kernelILb0ELb1ELi32EPK19rocblas_complex_numIdEPKS3_PKPS1_EvbiiT2_T3_lllSA_lllT4_llli.num_vgpr, 49
	.set _ZL24rocblas_symm_hemm_kernelILb0ELb1ELi32EPK19rocblas_complex_numIdEPKS3_PKPS1_EvbiiT2_T3_lllSA_lllT4_llli.num_agpr, 0
	.set _ZL24rocblas_symm_hemm_kernelILb0ELb1ELi32EPK19rocblas_complex_numIdEPKS3_PKPS1_EvbiiT2_T3_lllSA_lllT4_llli.numbered_sgpr, 36
	.set _ZL24rocblas_symm_hemm_kernelILb0ELb1ELi32EPK19rocblas_complex_numIdEPKS3_PKPS1_EvbiiT2_T3_lllSA_lllT4_llli.num_named_barrier, 0
	.set _ZL24rocblas_symm_hemm_kernelILb0ELb1ELi32EPK19rocblas_complex_numIdEPKS3_PKPS1_EvbiiT2_T3_lllSA_lllT4_llli.private_seg_size, 0
	.set _ZL24rocblas_symm_hemm_kernelILb0ELb1ELi32EPK19rocblas_complex_numIdEPKS3_PKPS1_EvbiiT2_T3_lllSA_lllT4_llli.uses_vcc, 1
	.set _ZL24rocblas_symm_hemm_kernelILb0ELb1ELi32EPK19rocblas_complex_numIdEPKS3_PKPS1_EvbiiT2_T3_lllSA_lllT4_llli.uses_flat_scratch, 0
	.set _ZL24rocblas_symm_hemm_kernelILb0ELb1ELi32EPK19rocblas_complex_numIdEPKS3_PKPS1_EvbiiT2_T3_lllSA_lllT4_llli.has_dyn_sized_stack, 0
	.set _ZL24rocblas_symm_hemm_kernelILb0ELb1ELi32EPK19rocblas_complex_numIdEPKS3_PKPS1_EvbiiT2_T3_lllSA_lllT4_llli.has_recursion, 0
	.set _ZL24rocblas_symm_hemm_kernelILb0ELb1ELi32EPK19rocblas_complex_numIdEPKS3_PKPS1_EvbiiT2_T3_lllSA_lllT4_llli.has_indirect_call, 0
	.section	.AMDGPU.csdata,"",@progbits
; Kernel info:
; codeLenInByte = 3008
; TotalNumSgprs: 40
; NumVgprs: 49
; ScratchSize: 0
; MemoryBound: 1
; FloatMode: 240
; IeeeMode: 1
; LDSByteSize: 32768 bytes/workgroup (compile time only)
; SGPRBlocks: 8
; VGPRBlocks: 12
; NumSGPRsForWavesPerEU: 65
; NumVGPRsForWavesPerEU: 49
; Occupancy: 4
; WaveLimiterHint : 1
; COMPUTE_PGM_RSRC2:SCRATCH_EN: 0
; COMPUTE_PGM_RSRC2:USER_SGPR: 6
; COMPUTE_PGM_RSRC2:TRAP_HANDLER: 0
; COMPUTE_PGM_RSRC2:TGID_X_EN: 1
; COMPUTE_PGM_RSRC2:TGID_Y_EN: 1
; COMPUTE_PGM_RSRC2:TGID_Z_EN: 1
; COMPUTE_PGM_RSRC2:TIDIG_COMP_CNT: 1
	.section	.text._ZL25rocblas_symm_scale_kernelILi128ELi8E19rocblas_complex_numIdEPKPS1_EviiT1_T2_llli,"axG",@progbits,_ZL25rocblas_symm_scale_kernelILi128ELi8E19rocblas_complex_numIdEPKPS1_EviiT1_T2_llli,comdat
	.globl	_ZL25rocblas_symm_scale_kernelILi128ELi8E19rocblas_complex_numIdEPKPS1_EviiT1_T2_llli ; -- Begin function _ZL25rocblas_symm_scale_kernelILi128ELi8E19rocblas_complex_numIdEPKPS1_EviiT1_T2_llli
	.p2align	8
	.type	_ZL25rocblas_symm_scale_kernelILi128ELi8E19rocblas_complex_numIdEPKPS1_EviiT1_T2_llli,@function
_ZL25rocblas_symm_scale_kernelILi128ELi8E19rocblas_complex_numIdEPKPS1_EviiT1_T2_llli: ; @_ZL25rocblas_symm_scale_kernelILi128ELi8E19rocblas_complex_numIdEPKPS1_EviiT1_T2_llli
; %bb.0:
	s_load_dwordx8 s[12:19], s[4:5], 0x8
	s_waitcnt lgkmcnt(0)
	v_cmp_eq_f64_e64 s[0:1], s[12:13], 1.0
	v_cmp_eq_f64_e64 s[2:3], s[14:15], 0
	s_and_b64 s[0:1], s[0:1], s[2:3]
	s_and_b64 vcc, exec, s[0:1]
	s_cbranch_vccnz .LBB53_6
; %bb.1:
	s_load_dwordx2 s[0:1], s[4:5], 0x0
	v_lshl_add_u32 v4, s7, 3, v1
	v_mov_b32_e32 v5, 0
	v_lshl_add_u32 v0, s6, 7, v0
	s_waitcnt lgkmcnt(0)
	s_ashr_i32 s3, s1, 31
	s_mov_b32 s2, s1
	v_cmp_gt_i64_e32 vcc, s[2:3], v[4:5]
	v_cmp_gt_u32_e64 s[0:1], s0, v0
	s_and_b64 s[0:1], s[0:1], vcc
	s_and_saveexec_b64 s[6:7], s[0:1]
	s_cbranch_execz .LBB53_6
; %bb.2:
	s_load_dwordx2 s[0:1], s[4:5], 0x28
	s_load_dword s20, s[4:5], 0x44
	s_mov_b32 s9, 0
	s_lshl_b64 s[6:7], s[8:9], 3
	s_add_u32 s6, s16, s6
	s_waitcnt lgkmcnt(0)
	v_mad_u64_u32 v[2:3], s[4:5], s0, v4, 0
	s_addc_u32 s7, s17, s7
	v_cmp_neq_f64_e64 s[10:11], s[12:13], 0
	v_mov_b32_e32 v1, v3
	v_mad_u64_u32 v[6:7], s[8:9], s1, v4, v[1:2]
	v_cmp_neq_f64_e64 s[16:17], s[14:15], 0
	s_load_dwordx2 s[6:7], s[6:7], 0x0
	v_mov_b32_e32 v3, v6
	v_lshlrev_b64 v[2:3], 4, v[2:3]
	v_mov_b32_e32 v1, v5
	s_lshl_b64 s[18:19], s[18:19], 4
	v_mov_b32_e32 v6, s19
	v_add_co_u32_e32 v2, vcc, s18, v2
	v_lshlrev_b64 v[0:1], 4, v[0:1]
	v_addc_co_u32_e32 v3, vcc, v3, v6, vcc
	v_add_co_u32_e32 v0, vcc, v2, v0
	s_lshl_b32 s8, s20, 3
	v_addc_co_u32_e32 v1, vcc, v3, v1, vcc
	s_waitcnt lgkmcnt(0)
	v_add_co_u32_e32 v6, vcc, s6, v0
	s_mul_i32 s1, s1, s8
	s_mul_hi_u32 s6, s0, s8
	s_add_i32 s1, s6, s1
	s_mul_i32 s0, s0, s8
	v_mov_b32_e32 v2, s7
	s_lshl_b64 s[6:7], s[0:1], 4
	s_or_b64 s[0:1], s[10:11], s[16:17]
	v_cndmask_b32_e64 v0, 0, 1, s[0:1]
	s_mov_b64 s[4:5], 0
	v_addc_co_u32_e32 v7, vcc, v2, v1, vcc
	v_cmp_ne_u32_e64 s[0:1], 1, v0
	s_branch .LBB53_4
.LBB53_3:                               ;   in Loop: Header=BB53_4 Depth=1
	v_add_co_u32_e32 v4, vcc, s8, v4
	v_addc_co_u32_e32 v5, vcc, 0, v5, vcc
	v_cmp_le_i64_e32 vcc, s[2:3], v[4:5]
	flat_store_dwordx4 v[6:7], v[0:3]
	s_or_b64 s[4:5], vcc, s[4:5]
	v_mov_b32_e32 v0, s7
	v_add_co_u32_e32 v6, vcc, s6, v6
	v_addc_co_u32_e32 v7, vcc, v7, v0, vcc
	s_andn2_b64 exec, exec, s[4:5]
	s_cbranch_execz .LBB53_6
.LBB53_4:                               ; =>This Inner Loop Header: Depth=1
	v_mov_b32_e32 v2, 0
	v_mov_b32_e32 v0, 0
	;; [unrolled: 1-line block ×3, first 2 shown]
	s_and_b64 vcc, exec, s[0:1]
	v_mov_b32_e32 v1, 0
	s_cbranch_vccnz .LBB53_3
; %bb.5:                                ;   in Loop: Header=BB53_4 Depth=1
	flat_load_dwordx4 v[8:11], v[6:7]
	s_waitcnt vmcnt(0) lgkmcnt(0)
	v_mul_f64 v[0:1], s[14:15], v[10:11]
	v_mul_f64 v[2:3], s[12:13], v[10:11]
	v_fma_f64 v[0:1], s[12:13], v[8:9], -v[0:1]
	v_fma_f64 v[2:3], s[14:15], v[8:9], v[2:3]
	s_branch .LBB53_3
.LBB53_6:
	s_endpgm
	.section	.rodata,"a",@progbits
	.p2align	6, 0x0
	.amdhsa_kernel _ZL25rocblas_symm_scale_kernelILi128ELi8E19rocblas_complex_numIdEPKPS1_EviiT1_T2_llli
		.amdhsa_group_segment_fixed_size 0
		.amdhsa_private_segment_fixed_size 0
		.amdhsa_kernarg_size 320
		.amdhsa_user_sgpr_count 6
		.amdhsa_user_sgpr_private_segment_buffer 1
		.amdhsa_user_sgpr_dispatch_ptr 0
		.amdhsa_user_sgpr_queue_ptr 0
		.amdhsa_user_sgpr_kernarg_segment_ptr 1
		.amdhsa_user_sgpr_dispatch_id 0
		.amdhsa_user_sgpr_flat_scratch_init 0
		.amdhsa_user_sgpr_private_segment_size 0
		.amdhsa_uses_dynamic_stack 0
		.amdhsa_system_sgpr_private_segment_wavefront_offset 0
		.amdhsa_system_sgpr_workgroup_id_x 1
		.amdhsa_system_sgpr_workgroup_id_y 1
		.amdhsa_system_sgpr_workgroup_id_z 1
		.amdhsa_system_sgpr_workgroup_info 0
		.amdhsa_system_vgpr_workitem_id 1
		.amdhsa_next_free_vgpr 12
		.amdhsa_next_free_sgpr 21
		.amdhsa_reserve_vcc 1
		.amdhsa_reserve_flat_scratch 0
		.amdhsa_float_round_mode_32 0
		.amdhsa_float_round_mode_16_64 0
		.amdhsa_float_denorm_mode_32 3
		.amdhsa_float_denorm_mode_16_64 3
		.amdhsa_dx10_clamp 1
		.amdhsa_ieee_mode 1
		.amdhsa_fp16_overflow 0
		.amdhsa_exception_fp_ieee_invalid_op 0
		.amdhsa_exception_fp_denorm_src 0
		.amdhsa_exception_fp_ieee_div_zero 0
		.amdhsa_exception_fp_ieee_overflow 0
		.amdhsa_exception_fp_ieee_underflow 0
		.amdhsa_exception_fp_ieee_inexact 0
		.amdhsa_exception_int_div_zero 0
	.end_amdhsa_kernel
	.section	.text._ZL25rocblas_symm_scale_kernelILi128ELi8E19rocblas_complex_numIdEPKPS1_EviiT1_T2_llli,"axG",@progbits,_ZL25rocblas_symm_scale_kernelILi128ELi8E19rocblas_complex_numIdEPKPS1_EviiT1_T2_llli,comdat
.Lfunc_end53:
	.size	_ZL25rocblas_symm_scale_kernelILi128ELi8E19rocblas_complex_numIdEPKPS1_EviiT1_T2_llli, .Lfunc_end53-_ZL25rocblas_symm_scale_kernelILi128ELi8E19rocblas_complex_numIdEPKPS1_EviiT1_T2_llli
                                        ; -- End function
	.set _ZL25rocblas_symm_scale_kernelILi128ELi8E19rocblas_complex_numIdEPKPS1_EviiT1_T2_llli.num_vgpr, 12
	.set _ZL25rocblas_symm_scale_kernelILi128ELi8E19rocblas_complex_numIdEPKPS1_EviiT1_T2_llli.num_agpr, 0
	.set _ZL25rocblas_symm_scale_kernelILi128ELi8E19rocblas_complex_numIdEPKPS1_EviiT1_T2_llli.numbered_sgpr, 21
	.set _ZL25rocblas_symm_scale_kernelILi128ELi8E19rocblas_complex_numIdEPKPS1_EviiT1_T2_llli.num_named_barrier, 0
	.set _ZL25rocblas_symm_scale_kernelILi128ELi8E19rocblas_complex_numIdEPKPS1_EviiT1_T2_llli.private_seg_size, 0
	.set _ZL25rocblas_symm_scale_kernelILi128ELi8E19rocblas_complex_numIdEPKPS1_EviiT1_T2_llli.uses_vcc, 1
	.set _ZL25rocblas_symm_scale_kernelILi128ELi8E19rocblas_complex_numIdEPKPS1_EviiT1_T2_llli.uses_flat_scratch, 0
	.set _ZL25rocblas_symm_scale_kernelILi128ELi8E19rocblas_complex_numIdEPKPS1_EviiT1_T2_llli.has_dyn_sized_stack, 0
	.set _ZL25rocblas_symm_scale_kernelILi128ELi8E19rocblas_complex_numIdEPKPS1_EviiT1_T2_llli.has_recursion, 0
	.set _ZL25rocblas_symm_scale_kernelILi128ELi8E19rocblas_complex_numIdEPKPS1_EviiT1_T2_llli.has_indirect_call, 0
	.section	.AMDGPU.csdata,"",@progbits
; Kernel info:
; codeLenInByte = 420
; TotalNumSgprs: 25
; NumVgprs: 12
; ScratchSize: 0
; MemoryBound: 0
; FloatMode: 240
; IeeeMode: 1
; LDSByteSize: 0 bytes/workgroup (compile time only)
; SGPRBlocks: 3
; VGPRBlocks: 2
; NumSGPRsForWavesPerEU: 25
; NumVGPRsForWavesPerEU: 12
; Occupancy: 10
; WaveLimiterHint : 0
; COMPUTE_PGM_RSRC2:SCRATCH_EN: 0
; COMPUTE_PGM_RSRC2:USER_SGPR: 6
; COMPUTE_PGM_RSRC2:TRAP_HANDLER: 0
; COMPUTE_PGM_RSRC2:TGID_X_EN: 1
; COMPUTE_PGM_RSRC2:TGID_Y_EN: 1
; COMPUTE_PGM_RSRC2:TGID_Z_EN: 1
; COMPUTE_PGM_RSRC2:TIDIG_COMP_CNT: 1
	.section	.text._ZL24rocblas_symm_hemm_kernelILb0ELb0ELi32E19rocblas_complex_numIdEPKPKS1_PKPS1_EvbiiT2_T3_lllSA_lllT4_llli,"axG",@progbits,_ZL24rocblas_symm_hemm_kernelILb0ELb0ELi32E19rocblas_complex_numIdEPKPKS1_PKPS1_EvbiiT2_T3_lllSA_lllT4_llli,comdat
	.globl	_ZL24rocblas_symm_hemm_kernelILb0ELb0ELi32E19rocblas_complex_numIdEPKPKS1_PKPS1_EvbiiT2_T3_lllSA_lllT4_llli ; -- Begin function _ZL24rocblas_symm_hemm_kernelILb0ELb0ELi32E19rocblas_complex_numIdEPKPKS1_PKPS1_EvbiiT2_T3_lllSA_lllT4_llli
	.p2align	8
	.type	_ZL24rocblas_symm_hemm_kernelILb0ELb0ELi32E19rocblas_complex_numIdEPKPKS1_PKPS1_EvbiiT2_T3_lllSA_lllT4_llli,@function
_ZL24rocblas_symm_hemm_kernelILb0ELb0ELi32E19rocblas_complex_numIdEPKPKS1_PKPS1_EvbiiT2_T3_lllSA_lllT4_llli: ; @_ZL24rocblas_symm_hemm_kernelILb0ELb0ELi32E19rocblas_complex_numIdEPKPKS1_PKPS1_EvbiiT2_T3_lllSA_lllT4_llli
; %bb.0:
	s_load_dwordx8 s[12:19], s[4:5], 0x10
	s_waitcnt lgkmcnt(0)
	v_cmp_eq_f64_e64 s[0:1], s[12:13], 0
	v_cmp_eq_f64_e64 s[2:3], s[14:15], 0
	s_and_b64 s[0:1], s[0:1], s[2:3]
	s_and_b64 vcc, exec, s[0:1]
	s_cbranch_vccnz .LBB54_13
; %bb.1:
	s_load_dwordx4 s[20:23], s[4:5], 0x0
	s_waitcnt lgkmcnt(0)
	s_add_i32 s0, s22, -1
	s_ashr_i32 s1, s0, 31
	s_lshr_b32 s1, s1, 27
	s_add_i32 s0, s0, s1
	s_ashr_i32 s23, s0, 5
	s_cmp_gt_i32 s7, s23
	s_cbranch_scc1 .LBB54_13
; %bb.2:
	s_mov_b32 s9, 0
	s_lshl_b64 s[8:9], s[8:9], 3
	s_add_u32 s16, s16, s8
	s_addc_u32 s17, s17, s9
	s_load_dwordx2 s[24:25], s[16:17], 0x0
	s_load_dwordx4 s[0:3], s[4:5], 0x40
	s_load_dwordx2 s[10:11], s[4:5], 0x30
	s_lshl_b64 s[16:17], s[18:19], 4
	v_lshl_add_u32 v14, s6, 5, v0
	s_waitcnt lgkmcnt(0)
	s_add_u32 s28, s24, s16
	s_addc_u32 s29, s25, s17
	s_add_u32 s0, s0, s8
	s_addc_u32 s1, s1, s9
	s_load_dwordx2 s[18:19], s[0:1], 0x0
	s_load_dwordx2 s[16:17], s[4:5], 0x50
	s_load_dwordx4 s[24:27], s[4:5], 0x60
	s_lshl_b64 s[0:1], s[2:3], 4
	v_lshlrev_b32_e32 v29, 9, v0
	s_waitcnt lgkmcnt(0)
	s_add_u32 s6, s18, s0
	s_addc_u32 s30, s19, s1
	s_add_u32 s0, s24, s8
	s_addc_u32 s1, s25, s9
	s_load_dwordx2 s[2:3], s[0:1], 0x0
	s_bitcmp1_b32 s20, 0
	s_cselect_b64 s[0:1], -1, 0
	s_lshl_b64 s[8:9], s[26:27], 4
	v_lshlrev_b32_e32 v2, 4, v1
	s_waitcnt lgkmcnt(0)
	s_add_u32 s8, s2, s8
	s_addc_u32 s9, s3, s9
	v_ashrrev_i32_e32 v15, 31, v14
	s_load_dwordx2 s[18:19], s[4:5], 0x70
	s_load_dword s20, s[4:5], 0x8c
	s_cmp_gt_i32 s21, 0
	v_add_u32_e32 v30, v29, v2
	v_or_b32_e32 v31, 0x4000, v2
	v_lshlrev_b64 v[2:3], 4, v[14:15]
	s_cselect_b64 s[4:5], -1, 0
	v_mov_b32_e32 v4, s9
	v_add_co_u32_e32 v33, vcc, s8, v2
	v_cndmask_b32_e64 v2, 0, 1, s[4:5]
	v_add_u32_e32 v32, v31, v29
	v_cmp_gt_i32_e64 s[2:3], s21, v14
	v_addc_co_u32_e32 v34, vcc, v4, v3, vcc
	v_cmp_ne_u32_e64 s[4:5], 1, v2
	s_branch .LBB54_4
.LBB54_3:                               ;   in Loop: Header=BB54_4 Depth=1
	s_waitcnt lgkmcnt(0)
	s_add_i32 s7, s7, s20
	s_cmp_gt_i32 s7, s23
	s_cbranch_scc1 .LBB54_13
.LBB54_4:                               ; =>This Loop Header: Depth=1
                                        ;     Child Loop BB54_7 Depth 2
	s_and_b64 vcc, exec, s[4:5]
	s_cbranch_vccnz .LBB54_3
; %bb.5:                                ;   in Loop: Header=BB54_4 Depth=1
	v_lshl_add_u32 v4, s7, 5, v1
	v_ashrrev_i32_e32 v5, 31, v4
	v_mul_lo_u32 v6, s16, v5
	v_mul_lo_u32 v7, s17, v4
	v_mad_u64_u32 v[2:3], s[8:9], s16, v4, 0
	v_cmp_gt_i32_e32 vcc, s22, v4
	s_waitcnt lgkmcnt(0)
	v_mul_lo_u32 v8, s19, v4
	v_add3_u32 v3, v3, v6, v7
	v_mul_lo_u32 v7, s18, v5
	v_mad_u64_u32 v[4:5], s[8:9], s18, v4, 0
	v_lshlrev_b64 v[2:3], 4, v[2:3]
	v_mov_b32_e32 v6, s30
	v_add_co_u32_e64 v35, s[8:9], s6, v2
	v_add3_u32 v5, v5, v7, v8
	v_addc_co_u32_e64 v36, s[8:9], v6, v3, s[8:9]
	v_lshlrev_b64 v[2:3], 4, v[4:5]
	s_and_b64 s[24:25], s[2:3], vcc
	v_add_co_u32_e64 v15, s[8:9], v33, v2
	v_addc_co_u32_e64 v16, s[8:9], v34, v3, s[8:9]
	s_mov_b32 s31, 0
	s_branch .LBB54_7
.LBB54_6:                               ;   in Loop: Header=BB54_7 Depth=2
	s_or_b64 exec, exec, s[8:9]
	s_add_i32 s31, s31, 32
	s_cmp_ge_i32 s31, s21
	s_waitcnt vmcnt(0) lgkmcnt(0)
	s_barrier
	s_cbranch_scc1 .LBB54_3
.LBB54_7:                               ;   Parent Loop BB54_4 Depth=1
                                        ; =>  This Inner Loop Header: Depth=2
	v_add_u32_e32 v2, s31, v1
	v_cndmask_b32_e64 v3, v2, v14, s[0:1]
	v_cndmask_b32_e64 v4, v14, v2, s[0:1]
	v_cmp_gt_i32_e64 s[8:9], v3, v4
	v_cndmask_b32_e64 v8, v14, v2, s[8:9]
	v_cndmask_b32_e64 v9, v2, v14, s[8:9]
	v_max_i32_e32 v10, v8, v9
	v_mov_b32_e32 v2, 0
	v_mov_b32_e32 v4, 0
	;; [unrolled: 1-line block ×6, first 2 shown]
	v_cmp_gt_i32_e64 s[8:9], s21, v10
	s_and_saveexec_b64 s[26:27], s[8:9]
	s_cbranch_execz .LBB54_9
; %bb.8:                                ;   in Loop: Header=BB54_7 Depth=2
	v_ashrrev_i32_e32 v6, 31, v9
	v_mul_lo_u32 v7, s11, v9
	v_mad_u64_u32 v[4:5], s[8:9], s10, v9, 0
	v_mul_lo_u32 v6, s10, v6
	v_ashrrev_i32_e32 v9, 31, v8
	v_add3_u32 v5, v5, v6, v7
	v_lshlrev_b64 v[4:5], 4, v[4:5]
	v_mov_b32_e32 v6, s29
	v_add_co_u32_e64 v7, s[8:9], s28, v4
	v_addc_co_u32_e64 v6, s[8:9], v6, v5, s[8:9]
	v_lshlrev_b64 v[4:5], 4, v[8:9]
	v_add_co_u32_e64 v4, s[8:9], v7, v4
	v_addc_co_u32_e64 v5, s[8:9], v6, v5, s[8:9]
	flat_load_dwordx4 v[4:7], v[4:5]
.LBB54_9:                               ;   in Loop: Header=BB54_7 Depth=2
	s_or_b64 exec, exec, s[26:27]
	s_waitcnt vmcnt(0) lgkmcnt(0)
	ds_write_b128 v30, v[4:7]
	v_add_u32_e32 v6, s31, v0
	v_cmp_gt_i32_e64 s[8:9], s21, v6
	v_mov_b32_e32 v4, 0
	v_mov_b32_e32 v5, 0
	s_and_b64 s[8:9], s[8:9], vcc
	s_and_saveexec_b64 s[26:27], s[8:9]
	s_cbranch_execz .LBB54_11
; %bb.10:                               ;   in Loop: Header=BB54_7 Depth=2
	v_ashrrev_i32_e32 v7, 31, v6
	v_lshlrev_b64 v[2:3], 4, v[6:7]
	v_add_co_u32_e64 v2, s[8:9], v35, v2
	v_addc_co_u32_e64 v3, s[8:9], v36, v3, s[8:9]
	flat_load_dwordx4 v[2:5], v[2:3]
.LBB54_11:                              ;   in Loop: Header=BB54_7 Depth=2
	s_or_b64 exec, exec, s[26:27]
	s_waitcnt vmcnt(0) lgkmcnt(0)
	ds_write_b128 v32, v[2:5]
	s_waitcnt lgkmcnt(0)
	s_barrier
	s_and_saveexec_b64 s[8:9], s[24:25]
	s_cbranch_execz .LBB54_6
; %bb.12:                               ;   in Loop: Header=BB54_7 Depth=2
	ds_read_b128 v[2:5], v31
	ds_read_b128 v[6:9], v29
	ds_read_b128 v[10:13], v29 offset:16
	ds_read_b128 v[17:20], v31 offset:512
	;; [unrolled: 1-line block ×3, first 2 shown]
	s_waitcnt lgkmcnt(3)
	v_mul_f64 v[25:26], v[4:5], v[8:9]
	v_mul_f64 v[8:9], v[2:3], v[8:9]
	s_waitcnt lgkmcnt(1)
	v_mul_f64 v[37:38], v[19:20], v[12:13]
	v_mul_f64 v[12:13], v[17:18], v[12:13]
	v_fma_f64 v[39:40], v[2:3], v[6:7], -v[25:26]
	v_fma_f64 v[41:42], v[4:5], v[6:7], v[8:9]
	ds_read_b128 v[2:5], v29 offset:32
	ds_read_b128 v[6:9], v29 offset:48
	;; [unrolled: 1-line block ×3, first 2 shown]
	v_fma_f64 v[17:18], v[17:18], v[10:11], -v[37:38]
	v_fma_f64 v[10:11], v[19:20], v[10:11], v[12:13]
	s_waitcnt lgkmcnt(2)
	v_mul_f64 v[12:13], v[23:24], v[4:5]
	v_mul_f64 v[4:5], v[21:22], v[4:5]
	v_add_f64 v[19:20], v[39:40], 0
	v_add_f64 v[37:38], v[41:42], 0
	s_waitcnt lgkmcnt(0)
	v_mul_f64 v[39:40], v[27:28], v[8:9]
	v_mul_f64 v[41:42], v[25:26], v[8:9]
	v_fma_f64 v[12:13], v[21:22], v[2:3], -v[12:13]
	v_fma_f64 v[43:44], v[23:24], v[2:3], v[4:5]
	ds_read_b128 v[2:5], v29 offset:64
	v_add_f64 v[45:46], v[19:20], v[17:18]
	v_add_f64 v[37:38], v[37:38], v[10:11]
	ds_read_b128 v[8:11], v31 offset:2048
	ds_read_b128 v[17:20], v31 offset:2560
	v_fma_f64 v[25:26], v[25:26], v[6:7], -v[39:40]
	v_fma_f64 v[6:7], v[27:28], v[6:7], v[41:42]
	ds_read_b128 v[21:24], v29 offset:80
	s_waitcnt lgkmcnt(2)
	v_mul_f64 v[27:28], v[10:11], v[4:5]
	v_mul_f64 v[4:5], v[8:9], v[4:5]
	v_add_f64 v[12:13], v[45:46], v[12:13]
	v_add_f64 v[37:38], v[37:38], v[43:44]
	v_fma_f64 v[27:28], v[8:9], v[2:3], -v[27:28]
	v_fma_f64 v[41:42], v[10:11], v[2:3], v[4:5]
	ds_read_b128 v[2:5], v29 offset:96
	s_waitcnt lgkmcnt(1)
	v_mul_f64 v[39:40], v[19:20], v[23:24]
	v_mul_f64 v[23:24], v[17:18], v[23:24]
	v_add_f64 v[25:26], v[12:13], v[25:26]
	v_add_f64 v[37:38], v[37:38], v[6:7]
	ds_read_b128 v[6:9], v31 offset:3072
	ds_read_b128 v[10:13], v31 offset:3584
	v_fma_f64 v[39:40], v[17:18], v[21:22], -v[39:40]
	v_fma_f64 v[21:22], v[19:20], v[21:22], v[23:24]
	s_waitcnt lgkmcnt(1)
	v_mul_f64 v[23:24], v[8:9], v[4:5]
	v_mul_f64 v[4:5], v[6:7], v[4:5]
	v_add_f64 v[25:26], v[25:26], v[27:28]
	v_add_f64 v[27:28], v[37:38], v[41:42]
	ds_read_b128 v[17:20], v29 offset:112
	v_fma_f64 v[23:24], v[6:7], v[2:3], -v[23:24]
	v_fma_f64 v[43:44], v[8:9], v[2:3], v[4:5]
	ds_read_b128 v[2:5], v29 offset:128
	s_waitcnt lgkmcnt(1)
	v_mul_f64 v[37:38], v[12:13], v[19:20]
	v_mul_f64 v[41:42], v[10:11], v[19:20]
	v_add_f64 v[25:26], v[25:26], v[39:40]
	v_add_f64 v[27:28], v[27:28], v[21:22]
	ds_read_b128 v[6:9], v31 offset:4096
	ds_read_b128 v[19:22], v31 offset:4608
	s_waitcnt lgkmcnt(1)
	v_mul_f64 v[39:40], v[8:9], v[4:5]
	v_mul_f64 v[4:5], v[6:7], v[4:5]
	v_fma_f64 v[37:38], v[10:11], v[17:18], -v[37:38]
	v_fma_f64 v[17:18], v[12:13], v[17:18], v[41:42]
	ds_read_b128 v[10:13], v29 offset:144
	v_add_f64 v[23:24], v[25:26], v[23:24]
	v_add_f64 v[25:26], v[27:28], v[43:44]
	v_fma_f64 v[39:40], v[6:7], v[2:3], -v[39:40]
	v_fma_f64 v[41:42], v[8:9], v[2:3], v[4:5]
	ds_read_b128 v[2:5], v29 offset:160
	s_waitcnt lgkmcnt(1)
	v_mul_f64 v[27:28], v[21:22], v[12:13]
	v_mul_f64 v[12:13], v[19:20], v[12:13]
	v_add_f64 v[37:38], v[23:24], v[37:38]
	v_add_f64 v[17:18], v[25:26], v[17:18]
	ds_read_b128 v[6:9], v31 offset:5120
	ds_read_b128 v[23:26], v31 offset:5632
	v_fma_f64 v[19:20], v[19:20], v[10:11], -v[27:28]
	s_waitcnt lgkmcnt(1)
	v_mul_f64 v[27:28], v[8:9], v[4:5]
	v_mul_f64 v[4:5], v[6:7], v[4:5]
	v_fma_f64 v[21:22], v[21:22], v[10:11], v[12:13]
	ds_read_b128 v[10:13], v29 offset:176
	v_add_f64 v[37:38], v[37:38], v[39:40]
	v_add_f64 v[17:18], v[17:18], v[41:42]
	v_fma_f64 v[27:28], v[6:7], v[2:3], -v[27:28]
	v_fma_f64 v[41:42], v[8:9], v[2:3], v[4:5]
	ds_read_b128 v[2:5], v29 offset:192
	s_waitcnt lgkmcnt(1)
	v_mul_f64 v[39:40], v[25:26], v[12:13]
	v_mul_f64 v[12:13], v[23:24], v[12:13]
	v_add_f64 v[37:38], v[37:38], v[19:20]
	v_add_f64 v[21:22], v[17:18], v[21:22]
	ds_read_b128 v[6:9], v31 offset:6144
	ds_read_b128 v[17:20], v31 offset:6656
	v_fma_f64 v[23:24], v[23:24], v[10:11], -v[39:40]
	s_waitcnt lgkmcnt(1)
	v_mul_f64 v[39:40], v[8:9], v[4:5]
	v_mul_f64 v[4:5], v[6:7], v[4:5]
	;; [unrolled: 18-line block ×8, first 2 shown]
	v_fma_f64 v[23:24], v[23:24], v[10:11], v[12:13]
	ds_read_b128 v[10:13], v29 offset:400
	v_add_f64 v[27:28], v[27:28], v[37:38]
	v_add_f64 v[25:26], v[25:26], v[41:42]
	v_fma_f64 v[43:44], v[6:7], v[2:3], -v[39:40]
	v_fma_f64 v[45:46], v[8:9], v[2:3], v[4:5]
	ds_read_b128 v[2:5], v29 offset:416
	s_waitcnt lgkmcnt(1)
	v_mul_f64 v[41:42], v[19:20], v[12:13]
	v_mul_f64 v[12:13], v[17:18], v[12:13]
	ds_read_b128 v[6:9], v31 offset:13312
	ds_read_b128 v[37:40], v31 offset:13824
	v_add_f64 v[21:22], v[27:28], v[21:22]
	v_add_f64 v[23:24], v[25:26], v[23:24]
	ds_read_b128 v[25:28], v29 offset:432
	v_fma_f64 v[41:42], v[17:18], v[10:11], -v[41:42]
	v_fma_f64 v[10:11], v[19:20], v[10:11], v[12:13]
	s_waitcnt lgkmcnt(2)
	v_mul_f64 v[12:13], v[8:9], v[4:5]
	v_mul_f64 v[4:5], v[6:7], v[4:5]
	v_add_f64 v[21:22], v[21:22], v[43:44]
	v_add_f64 v[43:44], v[23:24], v[45:46]
	v_fma_f64 v[19:20], v[6:7], v[2:3], -v[12:13]
	v_fma_f64 v[17:18], v[8:9], v[2:3], v[4:5]
	ds_read_b128 v[2:5], v29 offset:448
	s_waitcnt lgkmcnt(1)
	v_mul_f64 v[45:46], v[39:40], v[27:28]
	v_mul_f64 v[47:48], v[37:38], v[27:28]
	v_add_f64 v[23:24], v[21:22], v[41:42]
	v_add_f64 v[21:22], v[43:44], v[10:11]
	ds_read_b128 v[6:9], v31 offset:14336
	ds_read_b128 v[10:13], v31 offset:14848
	;; [unrolled: 1-line block ×3, first 2 shown]
	v_fma_f64 v[27:28], v[37:38], v[25:26], -v[45:46]
	v_fma_f64 v[25:26], v[39:40], v[25:26], v[47:48]
	flat_load_dwordx4 v[37:40], v[15:16]
	v_add_f64 v[19:20], v[23:24], v[19:20]
	s_waitcnt lgkmcnt(0)
	v_mul_f64 v[23:24], v[8:9], v[4:5]
	v_add_f64 v[17:18], v[21:22], v[17:18]
	v_mul_f64 v[4:5], v[6:7], v[4:5]
	v_add_f64 v[27:28], v[19:20], v[27:28]
	v_fma_f64 v[21:22], v[6:7], v[2:3], -v[23:24]
	v_add_f64 v[25:26], v[17:18], v[25:26]
	v_fma_f64 v[23:24], v[8:9], v[2:3], v[4:5]
	ds_read_b128 v[6:9], v29 offset:480
	v_mul_f64 v[45:46], v[12:13], v[43:44]
	v_mul_f64 v[43:44], v[10:11], v[43:44]
	ds_read_b128 v[2:5], v31 offset:15360
	v_add_f64 v[21:22], v[27:28], v[21:22]
	v_add_f64 v[23:24], v[25:26], v[23:24]
	s_waitcnt lgkmcnt(0)
	v_mul_f64 v[27:28], v[4:5], v[8:9]
	v_fma_f64 v[45:46], v[10:11], v[41:42], -v[45:46]
	v_fma_f64 v[41:42], v[12:13], v[41:42], v[43:44]
	v_mul_f64 v[8:9], v[2:3], v[8:9]
	ds_read_b128 v[10:13], v31 offset:15872
	ds_read_b128 v[17:20], v29 offset:496
	v_fma_f64 v[2:3], v[2:3], v[6:7], -v[27:28]
	v_add_f64 v[21:22], v[21:22], v[45:46]
	v_fma_f64 v[4:5], v[4:5], v[6:7], v[8:9]
	s_waitcnt lgkmcnt(0)
	v_mul_f64 v[6:7], v[12:13], v[19:20]
	v_mul_f64 v[8:9], v[10:11], v[19:20]
	v_add_f64 v[19:20], v[23:24], v[41:42]
	v_add_f64 v[2:3], v[21:22], v[2:3]
	v_fma_f64 v[6:7], v[10:11], v[17:18], -v[6:7]
	v_fma_f64 v[8:9], v[12:13], v[17:18], v[8:9]
	v_add_f64 v[4:5], v[19:20], v[4:5]
	v_add_f64 v[2:3], v[2:3], v[6:7]
	;; [unrolled: 1-line block ×3, first 2 shown]
	v_mul_f64 v[8:9], s[14:15], v[2:3]
	v_mul_f64 v[6:7], s[14:15], v[4:5]
	v_fma_f64 v[4:5], s[12:13], v[4:5], v[8:9]
	v_fma_f64 v[2:3], s[12:13], v[2:3], -v[6:7]
	s_waitcnt vmcnt(0)
	v_add_f64 v[2:3], v[37:38], v[2:3]
	v_add_f64 v[4:5], v[39:40], v[4:5]
	flat_store_dwordx4 v[15:16], v[2:5]
	s_branch .LBB54_6
.LBB54_13:
	s_endpgm
	.section	.rodata,"a",@progbits
	.p2align	6, 0x0
	.amdhsa_kernel _ZL24rocblas_symm_hemm_kernelILb0ELb0ELi32E19rocblas_complex_numIdEPKPKS1_PKPS1_EvbiiT2_T3_lllSA_lllT4_llli
		.amdhsa_group_segment_fixed_size 32768
		.amdhsa_private_segment_fixed_size 0
		.amdhsa_kernarg_size 392
		.amdhsa_user_sgpr_count 6
		.amdhsa_user_sgpr_private_segment_buffer 1
		.amdhsa_user_sgpr_dispatch_ptr 0
		.amdhsa_user_sgpr_queue_ptr 0
		.amdhsa_user_sgpr_kernarg_segment_ptr 1
		.amdhsa_user_sgpr_dispatch_id 0
		.amdhsa_user_sgpr_flat_scratch_init 0
		.amdhsa_user_sgpr_private_segment_size 0
		.amdhsa_uses_dynamic_stack 0
		.amdhsa_system_sgpr_private_segment_wavefront_offset 0
		.amdhsa_system_sgpr_workgroup_id_x 1
		.amdhsa_system_sgpr_workgroup_id_y 1
		.amdhsa_system_sgpr_workgroup_id_z 1
		.amdhsa_system_sgpr_workgroup_info 0
		.amdhsa_system_vgpr_workitem_id 1
		.amdhsa_next_free_vgpr 49
		.amdhsa_next_free_sgpr 61
		.amdhsa_reserve_vcc 1
		.amdhsa_reserve_flat_scratch 0
		.amdhsa_float_round_mode_32 0
		.amdhsa_float_round_mode_16_64 0
		.amdhsa_float_denorm_mode_32 3
		.amdhsa_float_denorm_mode_16_64 3
		.amdhsa_dx10_clamp 1
		.amdhsa_ieee_mode 1
		.amdhsa_fp16_overflow 0
		.amdhsa_exception_fp_ieee_invalid_op 0
		.amdhsa_exception_fp_denorm_src 0
		.amdhsa_exception_fp_ieee_div_zero 0
		.amdhsa_exception_fp_ieee_overflow 0
		.amdhsa_exception_fp_ieee_underflow 0
		.amdhsa_exception_fp_ieee_inexact 0
		.amdhsa_exception_int_div_zero 0
	.end_amdhsa_kernel
	.section	.text._ZL24rocblas_symm_hemm_kernelILb0ELb0ELi32E19rocblas_complex_numIdEPKPKS1_PKPS1_EvbiiT2_T3_lllSA_lllT4_llli,"axG",@progbits,_ZL24rocblas_symm_hemm_kernelILb0ELb0ELi32E19rocblas_complex_numIdEPKPKS1_PKPS1_EvbiiT2_T3_lllSA_lllT4_llli,comdat
.Lfunc_end54:
	.size	_ZL24rocblas_symm_hemm_kernelILb0ELb0ELi32E19rocblas_complex_numIdEPKPKS1_PKPS1_EvbiiT2_T3_lllSA_lllT4_llli, .Lfunc_end54-_ZL24rocblas_symm_hemm_kernelILb0ELb0ELi32E19rocblas_complex_numIdEPKPKS1_PKPS1_EvbiiT2_T3_lllSA_lllT4_llli
                                        ; -- End function
	.set _ZL24rocblas_symm_hemm_kernelILb0ELb0ELi32E19rocblas_complex_numIdEPKPKS1_PKPS1_EvbiiT2_T3_lllSA_lllT4_llli.num_vgpr, 49
	.set _ZL24rocblas_symm_hemm_kernelILb0ELb0ELi32E19rocblas_complex_numIdEPKPKS1_PKPS1_EvbiiT2_T3_lllSA_lllT4_llli.num_agpr, 0
	.set _ZL24rocblas_symm_hemm_kernelILb0ELb0ELi32E19rocblas_complex_numIdEPKPKS1_PKPS1_EvbiiT2_T3_lllSA_lllT4_llli.numbered_sgpr, 32
	.set _ZL24rocblas_symm_hemm_kernelILb0ELb0ELi32E19rocblas_complex_numIdEPKPKS1_PKPS1_EvbiiT2_T3_lllSA_lllT4_llli.num_named_barrier, 0
	.set _ZL24rocblas_symm_hemm_kernelILb0ELb0ELi32E19rocblas_complex_numIdEPKPKS1_PKPS1_EvbiiT2_T3_lllSA_lllT4_llli.private_seg_size, 0
	.set _ZL24rocblas_symm_hemm_kernelILb0ELb0ELi32E19rocblas_complex_numIdEPKPKS1_PKPS1_EvbiiT2_T3_lllSA_lllT4_llli.uses_vcc, 1
	.set _ZL24rocblas_symm_hemm_kernelILb0ELb0ELi32E19rocblas_complex_numIdEPKPKS1_PKPS1_EvbiiT2_T3_lllSA_lllT4_llli.uses_flat_scratch, 0
	.set _ZL24rocblas_symm_hemm_kernelILb0ELb0ELi32E19rocblas_complex_numIdEPKPKS1_PKPS1_EvbiiT2_T3_lllSA_lllT4_llli.has_dyn_sized_stack, 0
	.set _ZL24rocblas_symm_hemm_kernelILb0ELb0ELi32E19rocblas_complex_numIdEPKPKS1_PKPS1_EvbiiT2_T3_lllSA_lllT4_llli.has_recursion, 0
	.set _ZL24rocblas_symm_hemm_kernelILb0ELb0ELi32E19rocblas_complex_numIdEPKPKS1_PKPS1_EvbiiT2_T3_lllSA_lllT4_llli.has_indirect_call, 0
	.section	.AMDGPU.csdata,"",@progbits
; Kernel info:
; codeLenInByte = 3080
; TotalNumSgprs: 36
; NumVgprs: 49
; ScratchSize: 0
; MemoryBound: 1
; FloatMode: 240
; IeeeMode: 1
; LDSByteSize: 32768 bytes/workgroup (compile time only)
; SGPRBlocks: 8
; VGPRBlocks: 12
; NumSGPRsForWavesPerEU: 65
; NumVGPRsForWavesPerEU: 49
; Occupancy: 4
; WaveLimiterHint : 1
; COMPUTE_PGM_RSRC2:SCRATCH_EN: 0
; COMPUTE_PGM_RSRC2:USER_SGPR: 6
; COMPUTE_PGM_RSRC2:TRAP_HANDLER: 0
; COMPUTE_PGM_RSRC2:TGID_X_EN: 1
; COMPUTE_PGM_RSRC2:TGID_Y_EN: 1
; COMPUTE_PGM_RSRC2:TGID_Z_EN: 1
; COMPUTE_PGM_RSRC2:TIDIG_COMP_CNT: 1
	.section	.text._ZL24rocblas_symm_hemm_kernelILb0ELb1ELi32E19rocblas_complex_numIdEPKPKS1_PKPS1_EvbiiT2_T3_lllSA_lllT4_llli,"axG",@progbits,_ZL24rocblas_symm_hemm_kernelILb0ELb1ELi32E19rocblas_complex_numIdEPKPKS1_PKPS1_EvbiiT2_T3_lllSA_lllT4_llli,comdat
	.globl	_ZL24rocblas_symm_hemm_kernelILb0ELb1ELi32E19rocblas_complex_numIdEPKPKS1_PKPS1_EvbiiT2_T3_lllSA_lllT4_llli ; -- Begin function _ZL24rocblas_symm_hemm_kernelILb0ELb1ELi32E19rocblas_complex_numIdEPKPKS1_PKPS1_EvbiiT2_T3_lllSA_lllT4_llli
	.p2align	8
	.type	_ZL24rocblas_symm_hemm_kernelILb0ELb1ELi32E19rocblas_complex_numIdEPKPKS1_PKPS1_EvbiiT2_T3_lllSA_lllT4_llli,@function
_ZL24rocblas_symm_hemm_kernelILb0ELb1ELi32E19rocblas_complex_numIdEPKPKS1_PKPS1_EvbiiT2_T3_lllSA_lllT4_llli: ; @_ZL24rocblas_symm_hemm_kernelILb0ELb1ELi32E19rocblas_complex_numIdEPKPKS1_PKPS1_EvbiiT2_T3_lllSA_lllT4_llli
; %bb.0:
	s_load_dwordx8 s[12:19], s[4:5], 0x10
	s_waitcnt lgkmcnt(0)
	v_cmp_eq_f64_e64 s[0:1], s[12:13], 0
	v_cmp_eq_f64_e64 s[2:3], s[14:15], 0
	s_and_b64 s[0:1], s[0:1], s[2:3]
	s_and_b64 vcc, exec, s[0:1]
	s_cbranch_vccnz .LBB55_13
; %bb.1:
	s_load_dwordx4 s[20:23], s[4:5], 0x0
	s_waitcnt lgkmcnt(0)
	s_add_i32 s0, s22, -1
	s_ashr_i32 s1, s0, 31
	s_lshr_b32 s1, s1, 27
	s_add_i32 s0, s0, s1
	s_ashr_i32 s23, s0, 5
	s_cmp_gt_i32 s7, s23
	s_cbranch_scc1 .LBB55_13
; %bb.2:
	s_mov_b32 s9, 0
	s_lshl_b64 s[26:27], s[8:9], 3
	s_add_u32 s16, s16, s26
	s_addc_u32 s17, s17, s27
	s_load_dwordx2 s[24:25], s[16:17], 0x0
	s_load_dwordx2 s[8:9], s[4:5], 0x30
	s_load_dwordx4 s[0:3], s[4:5], 0x40
	s_load_dwordx2 s[10:11], s[4:5], 0x50
	s_load_dwordx4 s[28:31], s[4:5], 0x60
	s_lshl_b64 s[16:17], s[18:19], 4
	s_waitcnt lgkmcnt(0)
	s_add_u32 s24, s24, s16
	s_addc_u32 s25, s25, s17
	s_add_u32 s0, s0, s26
	s_addc_u32 s1, s1, s27
	;; [unrolled: 2-line block ×3, first 2 shown]
	s_load_dwordx2 s[18:19], s[16:17], 0x0
	s_load_dwordx2 s[26:27], s[0:1], 0x0
	s_bitcmp1_b32 s20, 0
	s_cselect_b64 s[0:1], -1, 0
	s_lshl_b64 s[16:17], s[30:31], 4
	s_waitcnt lgkmcnt(0)
	s_add_u32 s18, s18, s16
	s_addc_u32 s16, s19, s17
	s_lshl_b64 s[2:3], s[2:3], 4
	v_lshl_add_u32 v2, s6, 5, v0
	s_add_u32 s17, s26, s2
	v_ashrrev_i32_e32 v3, 31, v2
	s_addc_u32 s19, s27, s3
	v_cmp_gt_i32_e64 s[2:3], s21, v2
	v_lshlrev_b64 v[2:3], 4, v[2:3]
	v_mov_b32_e32 v4, s19
	v_add_co_u32_e32 v28, vcc, s17, v2
	v_addc_co_u32_e32 v29, vcc, v4, v3, vcc
	v_lshlrev_b32_e32 v30, 9, v0
	v_lshlrev_b32_e32 v4, 4, v1
	v_add_u32_e32 v31, v30, v4
	v_or_b32_e32 v32, 0x4000, v4
	v_mov_b32_e32 v4, s16
	s_load_dwordx2 s[16:17], s[4:5], 0x70
	s_load_dword s6, s[4:5], 0x8c
	s_cmp_gt_i32 s22, 0
	s_cselect_b64 s[4:5], -1, 0
	v_add_co_u32_e32 v34, vcc, s18, v2
	v_cndmask_b32_e64 v2, 0, 1, s[4:5]
	v_add_u32_e32 v33, v32, v30
	v_addc_co_u32_e32 v35, vcc, v4, v3, vcc
	v_cmp_ne_u32_e64 s[4:5], 1, v2
	s_branch .LBB55_4
.LBB55_3:                               ;   in Loop: Header=BB55_4 Depth=1
	s_waitcnt lgkmcnt(0)
	s_add_i32 s7, s7, s6
	s_cmp_gt_i32 s7, s23
	s_cbranch_scc1 .LBB55_13
.LBB55_4:                               ; =>This Loop Header: Depth=1
                                        ;     Child Loop BB55_7 Depth 2
	s_and_b64 vcc, exec, s[4:5]
	s_cbranch_vccnz .LBB55_3
; %bb.5:                                ;   in Loop: Header=BB55_4 Depth=1
	v_lshl_add_u32 v36, s7, 5, v1
	v_ashrrev_i32_e32 v2, 31, v36
	s_waitcnt lgkmcnt(0)
	v_mul_lo_u32 v4, s16, v2
	v_mul_lo_u32 v5, s17, v36
	v_mad_u64_u32 v[2:3], s[18:19], s16, v36, 0
	v_cmp_gt_i32_e32 vcc, s22, v36
	s_and_b64 s[18:19], s[2:3], vcc
	v_add3_u32 v3, v3, v4, v5
	v_lshlrev_b64 v[2:3], 4, v[2:3]
	s_mov_b32 s26, 0
	v_add_co_u32_e32 v14, vcc, v34, v2
	v_addc_co_u32_e32 v15, vcc, v35, v3, vcc
	s_branch .LBB55_7
.LBB55_6:                               ;   in Loop: Header=BB55_7 Depth=2
	s_or_b64 exec, exec, s[20:21]
	s_add_i32 s26, s26, 32
	s_cmp_ge_i32 s26, s22
	s_waitcnt vmcnt(0) lgkmcnt(0)
	s_barrier
	s_cbranch_scc1 .LBB55_3
.LBB55_7:                               ;   Parent Loop BB55_4 Depth=1
                                        ; =>  This Inner Loop Header: Depth=2
	v_add_u32_e32 v8, s26, v1
	v_cmp_gt_i32_e32 vcc, s22, v8
	v_mov_b32_e32 v2, 0
	v_mov_b32_e32 v4, 0
	;; [unrolled: 1-line block ×6, first 2 shown]
	s_and_b64 s[28:29], s[2:3], vcc
	s_and_saveexec_b64 s[20:21], s[28:29]
	s_cbranch_execz .LBB55_9
; %bb.8:                                ;   in Loop: Header=BB55_7 Depth=2
	v_ashrrev_i32_e32 v6, 31, v8
	v_mul_lo_u32 v7, s11, v8
	v_mad_u64_u32 v[4:5], s[28:29], s10, v8, 0
	v_mul_lo_u32 v6, s10, v6
	v_add3_u32 v5, v5, v6, v7
	v_lshlrev_b64 v[4:5], 4, v[4:5]
	v_add_co_u32_e32 v4, vcc, v28, v4
	v_addc_co_u32_e32 v5, vcc, v29, v5, vcc
	flat_load_dwordx4 v[4:7], v[4:5]
.LBB55_9:                               ;   in Loop: Header=BB55_7 Depth=2
	s_or_b64 exec, exec, s[20:21]
	s_waitcnt vmcnt(0) lgkmcnt(0)
	ds_write_b128 v31, v[4:7]
	v_add_u32_e32 v4, s26, v0
	v_cndmask_b32_e64 v5, v36, v4, s[0:1]
	v_cndmask_b32_e64 v6, v4, v36, s[0:1]
	v_cmp_gt_i32_e32 vcc, v5, v6
	v_cndmask_b32_e32 v6, v4, v36, vcc
	v_cndmask_b32_e32 v7, v36, v4, vcc
	v_max_i32_e32 v8, v6, v7
	v_mov_b32_e32 v4, 0
	v_mov_b32_e32 v5, 0
	v_cmp_gt_i32_e32 vcc, s22, v8
	s_and_saveexec_b64 s[20:21], vcc
	s_cbranch_execz .LBB55_11
; %bb.10:                               ;   in Loop: Header=BB55_7 Depth=2
	v_ashrrev_i32_e32 v4, 31, v7
	v_mul_lo_u32 v5, s9, v7
	v_mad_u64_u32 v[2:3], s[28:29], s8, v7, 0
	v_mul_lo_u32 v4, s8, v4
	v_ashrrev_i32_e32 v7, 31, v6
	v_add3_u32 v3, v3, v4, v5
	v_lshlrev_b64 v[2:3], 4, v[2:3]
	v_mov_b32_e32 v4, s25
	v_add_co_u32_e32 v5, vcc, s24, v2
	v_addc_co_u32_e32 v4, vcc, v4, v3, vcc
	v_lshlrev_b64 v[2:3], 4, v[6:7]
	v_add_co_u32_e32 v2, vcc, v5, v2
	v_addc_co_u32_e32 v3, vcc, v4, v3, vcc
	flat_load_dwordx4 v[2:5], v[2:3]
.LBB55_11:                              ;   in Loop: Header=BB55_7 Depth=2
	s_or_b64 exec, exec, s[20:21]
	s_waitcnt vmcnt(0) lgkmcnt(0)
	ds_write_b128 v33, v[2:5]
	s_waitcnt lgkmcnt(0)
	s_barrier
	s_and_saveexec_b64 s[20:21], s[18:19]
	s_cbranch_execz .LBB55_6
; %bb.12:                               ;   in Loop: Header=BB55_7 Depth=2
	ds_read_b128 v[2:5], v32
	ds_read_b128 v[6:9], v30
	ds_read_b128 v[10:13], v30 offset:16
	ds_read_b128 v[16:19], v32 offset:512
	;; [unrolled: 1-line block ×3, first 2 shown]
	s_waitcnt lgkmcnt(3)
	v_mul_f64 v[24:25], v[4:5], v[8:9]
	v_mul_f64 v[8:9], v[2:3], v[8:9]
	s_waitcnt lgkmcnt(1)
	v_mul_f64 v[37:38], v[18:19], v[12:13]
	v_mul_f64 v[12:13], v[16:17], v[12:13]
	v_fma_f64 v[39:40], v[2:3], v[6:7], -v[24:25]
	v_fma_f64 v[41:42], v[4:5], v[6:7], v[8:9]
	ds_read_b128 v[2:5], v30 offset:32
	ds_read_b128 v[6:9], v30 offset:48
	ds_read_b128 v[24:27], v32 offset:1536
	v_fma_f64 v[16:17], v[16:17], v[10:11], -v[37:38]
	v_fma_f64 v[10:11], v[18:19], v[10:11], v[12:13]
	s_waitcnt lgkmcnt(2)
	v_mul_f64 v[12:13], v[22:23], v[4:5]
	v_mul_f64 v[4:5], v[20:21], v[4:5]
	v_add_f64 v[18:19], v[39:40], 0
	v_add_f64 v[37:38], v[41:42], 0
	s_waitcnt lgkmcnt(0)
	v_mul_f64 v[39:40], v[26:27], v[8:9]
	v_mul_f64 v[41:42], v[24:25], v[8:9]
	v_fma_f64 v[12:13], v[20:21], v[2:3], -v[12:13]
	v_fma_f64 v[43:44], v[22:23], v[2:3], v[4:5]
	ds_read_b128 v[2:5], v30 offset:64
	v_add_f64 v[45:46], v[18:19], v[16:17]
	v_add_f64 v[37:38], v[37:38], v[10:11]
	ds_read_b128 v[8:11], v32 offset:2048
	ds_read_b128 v[16:19], v32 offset:2560
	v_fma_f64 v[24:25], v[24:25], v[6:7], -v[39:40]
	v_fma_f64 v[6:7], v[26:27], v[6:7], v[41:42]
	ds_read_b128 v[20:23], v30 offset:80
	s_waitcnt lgkmcnt(2)
	v_mul_f64 v[26:27], v[10:11], v[4:5]
	v_mul_f64 v[4:5], v[8:9], v[4:5]
	v_add_f64 v[12:13], v[45:46], v[12:13]
	v_add_f64 v[37:38], v[37:38], v[43:44]
	v_fma_f64 v[26:27], v[8:9], v[2:3], -v[26:27]
	v_fma_f64 v[41:42], v[10:11], v[2:3], v[4:5]
	ds_read_b128 v[2:5], v30 offset:96
	s_waitcnt lgkmcnt(1)
	v_mul_f64 v[39:40], v[18:19], v[22:23]
	v_mul_f64 v[22:23], v[16:17], v[22:23]
	v_add_f64 v[24:25], v[12:13], v[24:25]
	v_add_f64 v[37:38], v[37:38], v[6:7]
	ds_read_b128 v[6:9], v32 offset:3072
	ds_read_b128 v[10:13], v32 offset:3584
	v_fma_f64 v[39:40], v[16:17], v[20:21], -v[39:40]
	v_fma_f64 v[20:21], v[18:19], v[20:21], v[22:23]
	s_waitcnt lgkmcnt(1)
	v_mul_f64 v[22:23], v[8:9], v[4:5]
	v_mul_f64 v[4:5], v[6:7], v[4:5]
	v_add_f64 v[24:25], v[24:25], v[26:27]
	v_add_f64 v[26:27], v[37:38], v[41:42]
	ds_read_b128 v[16:19], v30 offset:112
	v_fma_f64 v[22:23], v[6:7], v[2:3], -v[22:23]
	v_fma_f64 v[43:44], v[8:9], v[2:3], v[4:5]
	ds_read_b128 v[2:5], v30 offset:128
	s_waitcnt lgkmcnt(1)
	v_mul_f64 v[37:38], v[12:13], v[18:19]
	v_mul_f64 v[41:42], v[10:11], v[18:19]
	v_add_f64 v[24:25], v[24:25], v[39:40]
	v_add_f64 v[26:27], v[26:27], v[20:21]
	ds_read_b128 v[6:9], v32 offset:4096
	ds_read_b128 v[18:21], v32 offset:4608
	s_waitcnt lgkmcnt(1)
	v_mul_f64 v[39:40], v[8:9], v[4:5]
	v_mul_f64 v[4:5], v[6:7], v[4:5]
	v_fma_f64 v[37:38], v[10:11], v[16:17], -v[37:38]
	v_fma_f64 v[16:17], v[12:13], v[16:17], v[41:42]
	ds_read_b128 v[10:13], v30 offset:144
	v_add_f64 v[22:23], v[24:25], v[22:23]
	v_add_f64 v[24:25], v[26:27], v[43:44]
	v_fma_f64 v[39:40], v[6:7], v[2:3], -v[39:40]
	v_fma_f64 v[41:42], v[8:9], v[2:3], v[4:5]
	ds_read_b128 v[2:5], v30 offset:160
	s_waitcnt lgkmcnt(1)
	v_mul_f64 v[26:27], v[20:21], v[12:13]
	v_mul_f64 v[12:13], v[18:19], v[12:13]
	v_add_f64 v[37:38], v[22:23], v[37:38]
	v_add_f64 v[16:17], v[24:25], v[16:17]
	ds_read_b128 v[6:9], v32 offset:5120
	ds_read_b128 v[22:25], v32 offset:5632
	v_fma_f64 v[18:19], v[18:19], v[10:11], -v[26:27]
	s_waitcnt lgkmcnt(1)
	v_mul_f64 v[26:27], v[8:9], v[4:5]
	v_mul_f64 v[4:5], v[6:7], v[4:5]
	v_fma_f64 v[20:21], v[20:21], v[10:11], v[12:13]
	ds_read_b128 v[10:13], v30 offset:176
	v_add_f64 v[37:38], v[37:38], v[39:40]
	v_add_f64 v[16:17], v[16:17], v[41:42]
	v_fma_f64 v[26:27], v[6:7], v[2:3], -v[26:27]
	v_fma_f64 v[41:42], v[8:9], v[2:3], v[4:5]
	ds_read_b128 v[2:5], v30 offset:192
	s_waitcnt lgkmcnt(1)
	v_mul_f64 v[39:40], v[24:25], v[12:13]
	v_mul_f64 v[12:13], v[22:23], v[12:13]
	v_add_f64 v[37:38], v[37:38], v[18:19]
	v_add_f64 v[20:21], v[16:17], v[20:21]
	ds_read_b128 v[6:9], v32 offset:6144
	ds_read_b128 v[16:19], v32 offset:6656
	v_fma_f64 v[22:23], v[22:23], v[10:11], -v[39:40]
	s_waitcnt lgkmcnt(1)
	v_mul_f64 v[39:40], v[8:9], v[4:5]
	v_mul_f64 v[4:5], v[6:7], v[4:5]
	;; [unrolled: 18-line block ×8, first 2 shown]
	v_fma_f64 v[22:23], v[22:23], v[10:11], v[12:13]
	ds_read_b128 v[10:13], v30 offset:400
	v_add_f64 v[26:27], v[26:27], v[37:38]
	v_add_f64 v[24:25], v[24:25], v[41:42]
	v_fma_f64 v[43:44], v[6:7], v[2:3], -v[39:40]
	v_fma_f64 v[45:46], v[8:9], v[2:3], v[4:5]
	ds_read_b128 v[2:5], v30 offset:416
	s_waitcnt lgkmcnt(1)
	v_mul_f64 v[41:42], v[18:19], v[12:13]
	v_mul_f64 v[12:13], v[16:17], v[12:13]
	ds_read_b128 v[6:9], v32 offset:13312
	ds_read_b128 v[37:40], v32 offset:13824
	v_add_f64 v[20:21], v[26:27], v[20:21]
	v_add_f64 v[22:23], v[24:25], v[22:23]
	ds_read_b128 v[24:27], v30 offset:432
	v_fma_f64 v[41:42], v[16:17], v[10:11], -v[41:42]
	v_fma_f64 v[10:11], v[18:19], v[10:11], v[12:13]
	s_waitcnt lgkmcnt(2)
	v_mul_f64 v[12:13], v[8:9], v[4:5]
	v_mul_f64 v[4:5], v[6:7], v[4:5]
	v_add_f64 v[20:21], v[20:21], v[43:44]
	v_add_f64 v[43:44], v[22:23], v[45:46]
	v_fma_f64 v[18:19], v[6:7], v[2:3], -v[12:13]
	v_fma_f64 v[16:17], v[8:9], v[2:3], v[4:5]
	ds_read_b128 v[2:5], v30 offset:448
	s_waitcnt lgkmcnt(1)
	v_mul_f64 v[45:46], v[39:40], v[26:27]
	v_mul_f64 v[47:48], v[37:38], v[26:27]
	v_add_f64 v[22:23], v[20:21], v[41:42]
	v_add_f64 v[20:21], v[43:44], v[10:11]
	ds_read_b128 v[6:9], v32 offset:14336
	ds_read_b128 v[10:13], v32 offset:14848
	;; [unrolled: 1-line block ×3, first 2 shown]
	v_fma_f64 v[26:27], v[37:38], v[24:25], -v[45:46]
	v_fma_f64 v[24:25], v[39:40], v[24:25], v[47:48]
	flat_load_dwordx4 v[37:40], v[14:15]
	v_add_f64 v[18:19], v[22:23], v[18:19]
	s_waitcnt lgkmcnt(0)
	v_mul_f64 v[22:23], v[8:9], v[4:5]
	v_add_f64 v[16:17], v[20:21], v[16:17]
	v_mul_f64 v[4:5], v[6:7], v[4:5]
	v_add_f64 v[26:27], v[18:19], v[26:27]
	v_fma_f64 v[20:21], v[6:7], v[2:3], -v[22:23]
	v_add_f64 v[24:25], v[16:17], v[24:25]
	v_fma_f64 v[22:23], v[8:9], v[2:3], v[4:5]
	ds_read_b128 v[6:9], v30 offset:480
	v_mul_f64 v[45:46], v[12:13], v[43:44]
	v_mul_f64 v[43:44], v[10:11], v[43:44]
	ds_read_b128 v[2:5], v32 offset:15360
	v_add_f64 v[20:21], v[26:27], v[20:21]
	v_add_f64 v[22:23], v[24:25], v[22:23]
	s_waitcnt lgkmcnt(0)
	v_mul_f64 v[26:27], v[4:5], v[8:9]
	v_fma_f64 v[45:46], v[10:11], v[41:42], -v[45:46]
	v_fma_f64 v[41:42], v[12:13], v[41:42], v[43:44]
	v_mul_f64 v[8:9], v[2:3], v[8:9]
	ds_read_b128 v[10:13], v32 offset:15872
	ds_read_b128 v[16:19], v30 offset:496
	v_fma_f64 v[2:3], v[2:3], v[6:7], -v[26:27]
	v_add_f64 v[20:21], v[20:21], v[45:46]
	v_fma_f64 v[4:5], v[4:5], v[6:7], v[8:9]
	s_waitcnt lgkmcnt(0)
	v_mul_f64 v[6:7], v[12:13], v[18:19]
	v_mul_f64 v[8:9], v[10:11], v[18:19]
	v_add_f64 v[18:19], v[22:23], v[41:42]
	v_add_f64 v[2:3], v[20:21], v[2:3]
	v_fma_f64 v[6:7], v[10:11], v[16:17], -v[6:7]
	v_fma_f64 v[8:9], v[12:13], v[16:17], v[8:9]
	v_add_f64 v[4:5], v[18:19], v[4:5]
	v_add_f64 v[2:3], v[2:3], v[6:7]
	;; [unrolled: 1-line block ×3, first 2 shown]
	v_mul_f64 v[8:9], s[14:15], v[2:3]
	v_mul_f64 v[6:7], s[14:15], v[4:5]
	v_fma_f64 v[4:5], s[12:13], v[4:5], v[8:9]
	v_fma_f64 v[2:3], s[12:13], v[2:3], -v[6:7]
	s_waitcnt vmcnt(0)
	v_add_f64 v[2:3], v[37:38], v[2:3]
	v_add_f64 v[4:5], v[39:40], v[4:5]
	flat_store_dwordx4 v[14:15], v[2:5]
	s_branch .LBB55_6
.LBB55_13:
	s_endpgm
	.section	.rodata,"a",@progbits
	.p2align	6, 0x0
	.amdhsa_kernel _ZL24rocblas_symm_hemm_kernelILb0ELb1ELi32E19rocblas_complex_numIdEPKPKS1_PKPS1_EvbiiT2_T3_lllSA_lllT4_llli
		.amdhsa_group_segment_fixed_size 32768
		.amdhsa_private_segment_fixed_size 0
		.amdhsa_kernarg_size 392
		.amdhsa_user_sgpr_count 6
		.amdhsa_user_sgpr_private_segment_buffer 1
		.amdhsa_user_sgpr_dispatch_ptr 0
		.amdhsa_user_sgpr_queue_ptr 0
		.amdhsa_user_sgpr_kernarg_segment_ptr 1
		.amdhsa_user_sgpr_dispatch_id 0
		.amdhsa_user_sgpr_flat_scratch_init 0
		.amdhsa_user_sgpr_private_segment_size 0
		.amdhsa_uses_dynamic_stack 0
		.amdhsa_system_sgpr_private_segment_wavefront_offset 0
		.amdhsa_system_sgpr_workgroup_id_x 1
		.amdhsa_system_sgpr_workgroup_id_y 1
		.amdhsa_system_sgpr_workgroup_id_z 1
		.amdhsa_system_sgpr_workgroup_info 0
		.amdhsa_system_vgpr_workitem_id 1
		.amdhsa_next_free_vgpr 49
		.amdhsa_next_free_sgpr 61
		.amdhsa_reserve_vcc 1
		.amdhsa_reserve_flat_scratch 0
		.amdhsa_float_round_mode_32 0
		.amdhsa_float_round_mode_16_64 0
		.amdhsa_float_denorm_mode_32 3
		.amdhsa_float_denorm_mode_16_64 3
		.amdhsa_dx10_clamp 1
		.amdhsa_ieee_mode 1
		.amdhsa_fp16_overflow 0
		.amdhsa_exception_fp_ieee_invalid_op 0
		.amdhsa_exception_fp_denorm_src 0
		.amdhsa_exception_fp_ieee_div_zero 0
		.amdhsa_exception_fp_ieee_overflow 0
		.amdhsa_exception_fp_ieee_underflow 0
		.amdhsa_exception_fp_ieee_inexact 0
		.amdhsa_exception_int_div_zero 0
	.end_amdhsa_kernel
	.section	.text._ZL24rocblas_symm_hemm_kernelILb0ELb1ELi32E19rocblas_complex_numIdEPKPKS1_PKPS1_EvbiiT2_T3_lllSA_lllT4_llli,"axG",@progbits,_ZL24rocblas_symm_hemm_kernelILb0ELb1ELi32E19rocblas_complex_numIdEPKPKS1_PKPS1_EvbiiT2_T3_lllSA_lllT4_llli,comdat
.Lfunc_end55:
	.size	_ZL24rocblas_symm_hemm_kernelILb0ELb1ELi32E19rocblas_complex_numIdEPKPKS1_PKPS1_EvbiiT2_T3_lllSA_lllT4_llli, .Lfunc_end55-_ZL24rocblas_symm_hemm_kernelILb0ELb1ELi32E19rocblas_complex_numIdEPKPKS1_PKPS1_EvbiiT2_T3_lllSA_lllT4_llli
                                        ; -- End function
	.set _ZL24rocblas_symm_hemm_kernelILb0ELb1ELi32E19rocblas_complex_numIdEPKPKS1_PKPS1_EvbiiT2_T3_lllSA_lllT4_llli.num_vgpr, 49
	.set _ZL24rocblas_symm_hemm_kernelILb0ELb1ELi32E19rocblas_complex_numIdEPKPKS1_PKPS1_EvbiiT2_T3_lllSA_lllT4_llli.num_agpr, 0
	.set _ZL24rocblas_symm_hemm_kernelILb0ELb1ELi32E19rocblas_complex_numIdEPKPKS1_PKPS1_EvbiiT2_T3_lllSA_lllT4_llli.numbered_sgpr, 32
	.set _ZL24rocblas_symm_hemm_kernelILb0ELb1ELi32E19rocblas_complex_numIdEPKPKS1_PKPS1_EvbiiT2_T3_lllSA_lllT4_llli.num_named_barrier, 0
	.set _ZL24rocblas_symm_hemm_kernelILb0ELb1ELi32E19rocblas_complex_numIdEPKPKS1_PKPS1_EvbiiT2_T3_lllSA_lllT4_llli.private_seg_size, 0
	.set _ZL24rocblas_symm_hemm_kernelILb0ELb1ELi32E19rocblas_complex_numIdEPKPKS1_PKPS1_EvbiiT2_T3_lllSA_lllT4_llli.uses_vcc, 1
	.set _ZL24rocblas_symm_hemm_kernelILb0ELb1ELi32E19rocblas_complex_numIdEPKPKS1_PKPS1_EvbiiT2_T3_lllSA_lllT4_llli.uses_flat_scratch, 0
	.set _ZL24rocblas_symm_hemm_kernelILb0ELb1ELi32E19rocblas_complex_numIdEPKPKS1_PKPS1_EvbiiT2_T3_lllSA_lllT4_llli.has_dyn_sized_stack, 0
	.set _ZL24rocblas_symm_hemm_kernelILb0ELb1ELi32E19rocblas_complex_numIdEPKPKS1_PKPS1_EvbiiT2_T3_lllSA_lllT4_llli.has_recursion, 0
	.set _ZL24rocblas_symm_hemm_kernelILb0ELb1ELi32E19rocblas_complex_numIdEPKPKS1_PKPS1_EvbiiT2_T3_lllSA_lllT4_llli.has_indirect_call, 0
	.section	.AMDGPU.csdata,"",@progbits
; Kernel info:
; codeLenInByte = 3008
; TotalNumSgprs: 36
; NumVgprs: 49
; ScratchSize: 0
; MemoryBound: 1
; FloatMode: 240
; IeeeMode: 1
; LDSByteSize: 32768 bytes/workgroup (compile time only)
; SGPRBlocks: 8
; VGPRBlocks: 12
; NumSGPRsForWavesPerEU: 65
; NumVGPRsForWavesPerEU: 49
; Occupancy: 4
; WaveLimiterHint : 1
; COMPUTE_PGM_RSRC2:SCRATCH_EN: 0
; COMPUTE_PGM_RSRC2:USER_SGPR: 6
; COMPUTE_PGM_RSRC2:TRAP_HANDLER: 0
; COMPUTE_PGM_RSRC2:TGID_X_EN: 1
; COMPUTE_PGM_RSRC2:TGID_Y_EN: 1
; COMPUTE_PGM_RSRC2:TGID_Z_EN: 1
; COMPUTE_PGM_RSRC2:TIDIG_COMP_CNT: 1
	.section	.text._ZL24rocblas_symm_hemm_kernelILb1ELb0ELi32EPK19rocblas_complex_numIfEPKS3_PKPS1_EvbiiT2_T3_lllSA_lllT4_llli,"axG",@progbits,_ZL24rocblas_symm_hemm_kernelILb1ELb0ELi32EPK19rocblas_complex_numIfEPKS3_PKPS1_EvbiiT2_T3_lllSA_lllT4_llli,comdat
	.globl	_ZL24rocblas_symm_hemm_kernelILb1ELb0ELi32EPK19rocblas_complex_numIfEPKS3_PKPS1_EvbiiT2_T3_lllSA_lllT4_llli ; -- Begin function _ZL24rocblas_symm_hemm_kernelILb1ELb0ELi32EPK19rocblas_complex_numIfEPKS3_PKPS1_EvbiiT2_T3_lllSA_lllT4_llli
	.p2align	8
	.type	_ZL24rocblas_symm_hemm_kernelILb1ELb0ELi32EPK19rocblas_complex_numIfEPKS3_PKPS1_EvbiiT2_T3_lllSA_lllT4_llli,@function
_ZL24rocblas_symm_hemm_kernelILb1ELb0ELi32EPK19rocblas_complex_numIfEPKS3_PKPS1_EvbiiT2_T3_lllSA_lllT4_llli: ; @_ZL24rocblas_symm_hemm_kernelILb1ELb0ELi32EPK19rocblas_complex_numIfEPKS3_PKPS1_EvbiiT2_T3_lllSA_lllT4_llli
; %bb.0:
	s_load_dwordx8 s[12:19], s[4:5], 0x10
	s_waitcnt lgkmcnt(0)
	s_load_dwordx2 s[24:25], s[12:13], 0x0
	s_waitcnt lgkmcnt(0)
	v_cmp_eq_f32_e64 s[0:1], s24, 0
	v_cmp_eq_f32_e64 s[2:3], s25, 0
	s_and_b64 s[0:1], s[0:1], s[2:3]
	s_and_b64 vcc, exec, s[0:1]
	s_cbranch_vccnz .LBB56_21
; %bb.1:
	s_load_dwordx4 s[20:23], s[4:5], 0x0
	s_waitcnt lgkmcnt(0)
	s_add_i32 s0, s22, -1
	s_ashr_i32 s1, s0, 31
	s_lshr_b32 s1, s1, 27
	s_add_i32 s0, s0, s1
	s_ashr_i32 s23, s0, 5
	s_cmp_gt_i32 s7, s23
	s_cbranch_scc1 .LBB56_21
; %bb.2:
	s_load_dwordx4 s[0:3], s[4:5], 0x38
	s_load_dwordx2 s[12:13], s[4:5], 0x48
	s_mov_b32 s9, 0
	s_lshl_b64 s[26:27], s[8:9], 3
	s_add_u32 s28, s14, s26
	s_addc_u32 s29, s15, s27
	s_waitcnt lgkmcnt(0)
	s_add_u32 s0, s0, s26
	s_addc_u32 s1, s1, s27
	s_load_dwordx2 s[30:31], s[0:1], 0x0
	s_load_dwordx4 s[8:11], s[4:5], 0x58
	s_load_dwordx2 s[14:15], s[4:5], 0x68
	s_lshl_b64 s[0:1], s[2:3], 3
	v_lshl_add_u32 v10, s6, 5, v0
	s_waitcnt lgkmcnt(0)
	s_add_u32 s30, s30, s0
	s_addc_u32 s31, s31, s1
	s_add_u32 s0, s8, s26
	s_addc_u32 s1, s9, s27
	s_load_dwordx2 s[2:3], s[0:1], 0x0
	s_load_dwordx2 s[8:9], s[28:29], 0x0
	s_bitcmp1_b32 s20, 0
	s_cselect_b64 s[0:1], -1, 0
	s_lshl_b64 s[10:11], s[10:11], 3
	s_waitcnt lgkmcnt(0)
	s_add_u32 s10, s2, s10
	s_addc_u32 s11, s3, s11
	s_lshl_b64 s[2:3], s[16:17], 3
	s_add_u32 s8, s8, s2
	v_ashrrev_i32_e32 v11, 31, v10
	s_addc_u32 s9, s9, s3
	v_mul_lo_u32 v7, s18, v11
	v_mul_lo_u32 v8, s19, v10
	v_mad_u64_u32 v[4:5], s[2:3], s18, v10, 0
	v_lshlrev_b64 v[2:3], 3, v[10:11]
	v_mov_b32_e32 v6, s9
	v_add3_u32 v5, v5, v7, v8
	v_add_co_u32_e32 v15, vcc, s8, v2
	v_lshlrev_b64 v[4:5], 3, v[4:5]
	v_addc_co_u32_e32 v16, vcc, v6, v3, vcc
	v_add_co_u32_e32 v17, vcc, s8, v4
	v_addc_co_u32_e32 v18, vcc, v6, v5, vcc
	v_lshlrev_b32_e32 v19, 8, v0
	v_lshlrev_b32_e32 v6, 3, v1
	s_load_dword s6, s[4:5], 0x84
	s_cmp_gt_i32 s21, 0
	v_add_u32_e32 v20, v19, v6
	v_or_b32_e32 v21, 0x2000, v6
	v_mov_b32_e32 v6, s11
	v_add_co_u32_e32 v22, vcc, s10, v2
	v_addc_co_u32_e32 v23, vcc, v6, v3, vcc
	s_cselect_b64 s[4:5], -1, 0
	v_add_co_u32_e32 v11, vcc, v15, v4
	v_cndmask_b32_e64 v2, 0, 1, s[4:5]
	v_cmp_gt_i32_e64 s[2:3], s21, v10
	v_addc_co_u32_e32 v12, vcc, v16, v5, vcc
	v_cmp_ne_u32_e64 s[4:5], 1, v2
	s_branch .LBB56_4
.LBB56_3:                               ;   in Loop: Header=BB56_4 Depth=1
	s_waitcnt lgkmcnt(0)
	s_add_i32 s7, s7, s6
	s_cmp_gt_i32 s7, s23
	s_cbranch_scc1 .LBB56_21
.LBB56_4:                               ; =>This Loop Header: Depth=1
                                        ;     Child Loop BB56_7 Depth 2
	s_and_b64 vcc, exec, s[4:5]
	s_cbranch_vccnz .LBB56_3
; %bb.5:                                ;   in Loop: Header=BB56_4 Depth=1
	v_lshl_add_u32 v4, s7, 5, v1
	v_ashrrev_i32_e32 v5, 31, v4
	v_mul_lo_u32 v6, s12, v5
	v_mul_lo_u32 v7, s13, v4
	v_mad_u64_u32 v[2:3], s[8:9], s12, v4, 0
	v_cmp_gt_i32_e32 vcc, s22, v4
	v_mul_lo_u32 v8, s15, v4
	v_add3_u32 v3, v3, v6, v7
	v_mul_lo_u32 v7, s14, v5
	v_mad_u64_u32 v[4:5], s[8:9], s14, v4, 0
	v_lshlrev_b64 v[2:3], 3, v[2:3]
	v_mov_b32_e32 v6, s31
	v_add_co_u32_e64 v24, s[8:9], s30, v2
	v_add3_u32 v5, v5, v7, v8
	v_addc_co_u32_e64 v25, s[8:9], v6, v3, s[8:9]
	v_lshlrev_b64 v[2:3], 3, v[4:5]
	s_and_b64 s[16:17], s[2:3], vcc
	v_add_co_u32_e64 v13, s[8:9], v22, v2
	v_addc_co_u32_e64 v14, s[8:9], v23, v3, s[8:9]
	s_mov_b32 s20, 0
	s_branch .LBB56_7
.LBB56_6:                               ;   in Loop: Header=BB56_7 Depth=2
	s_or_b64 exec, exec, s[8:9]
	s_add_i32 s20, s20, 32
	s_cmp_ge_i32 s20, s21
	s_waitcnt vmcnt(0) lgkmcnt(0)
	s_barrier
	s_cbranch_scc1 .LBB56_3
.LBB56_7:                               ;   Parent Loop BB56_4 Depth=1
                                        ; =>  This Inner Loop Header: Depth=2
	v_add_u32_e32 v5, s20, v1
	v_cndmask_b32_e64 v2, v5, v10, s[0:1]
	v_cndmask_b32_e64 v3, v10, v5, s[0:1]
	v_cmp_gt_i32_e64 s[10:11], v2, v3
	v_cmp_le_i32_e64 s[8:9], v2, v3
	v_cndmask_b32_e64 v2, v10, v5, s[10:11]
	v_cndmask_b32_e64 v3, v5, v10, s[10:11]
	v_max_i32_e32 v2, v2, v3
	v_cmp_gt_i32_e64 s[10:11], s21, v2
	v_mov_b32_e32 v2, 0
	v_mov_b32_e32 v3, 0
	;; [unrolled: 1-line block ×3, first 2 shown]
	s_and_saveexec_b64 s[26:27], s[10:11]
	s_cbranch_execz .LBB56_17
; %bb.8:                                ;   in Loop: Header=BB56_7 Depth=2
                                        ; implicit-def: $vgpr4
	s_and_saveexec_b64 s[10:11], s[8:9]
	s_xor_b64 s[10:11], exec, s[10:11]
	s_cbranch_execz .LBB56_14
; %bb.9:                                ;   in Loop: Header=BB56_7 Depth=2
	v_cmp_ne_u32_e64 s[8:9], v5, v10
                                        ; implicit-def: $vgpr4
	s_and_saveexec_b64 s[28:29], s[8:9]
	s_xor_b64 s[28:29], exec, s[28:29]
	s_cbranch_execz .LBB56_11
; %bb.10:                               ;   in Loop: Header=BB56_7 Depth=2
	v_ashrrev_i32_e32 v6, 31, v5
	v_mul_lo_u32 v7, s19, v5
	v_mad_u64_u32 v[3:4], s[8:9], s18, v5, 0
	v_mul_lo_u32 v5, s18, v6
	v_add3_u32 v4, v4, v5, v7
	v_lshlrev_b64 v[3:4], 3, v[3:4]
	v_add_co_u32_e64 v3, s[8:9], v15, v3
	v_addc_co_u32_e64 v4, s[8:9], v16, v4, s[8:9]
	flat_load_dwordx2 v[3:4], v[3:4]
.LBB56_11:                              ;   in Loop: Header=BB56_7 Depth=2
	s_andn2_saveexec_b64 s[8:9], s[28:29]
	s_cbranch_execz .LBB56_13
; %bb.12:                               ;   in Loop: Header=BB56_7 Depth=2
	s_waitcnt vmcnt(0) lgkmcnt(0)
	flat_load_dword v3, v[11:12]
	v_mov_b32_e32 v4, 0
.LBB56_13:                              ;   in Loop: Header=BB56_7 Depth=2
	s_or_b64 exec, exec, s[8:9]
                                        ; implicit-def: $vgpr5
.LBB56_14:                              ;   in Loop: Header=BB56_7 Depth=2
	s_andn2_saveexec_b64 s[10:11], s[10:11]
	s_cbranch_execz .LBB56_16
; %bb.15:                               ;   in Loop: Header=BB56_7 Depth=2
	v_ashrrev_i32_e32 v6, 31, v5
	s_waitcnt vmcnt(0) lgkmcnt(0)
	v_lshlrev_b64 v[3:4], 3, v[5:6]
	v_add_co_u32_e64 v3, s[8:9], v17, v3
	v_addc_co_u32_e64 v4, s[8:9], v18, v4, s[8:9]
	flat_load_dwordx2 v[3:4], v[3:4]
	s_waitcnt vmcnt(0) lgkmcnt(0)
	v_xor_b32_e32 v4, 0x80000000, v4
.LBB56_16:                              ;   in Loop: Header=BB56_7 Depth=2
	s_or_b64 exec, exec, s[10:11]
.LBB56_17:                              ;   in Loop: Header=BB56_7 Depth=2
	s_or_b64 exec, exec, s[26:27]
	s_waitcnt vmcnt(0) lgkmcnt(0)
	ds_write_b64 v20, v[3:4]
	v_add_u32_e32 v4, s20, v0
	v_cmp_gt_i32_e64 s[8:9], s21, v4
	s_and_b64 s[8:9], s[8:9], vcc
	v_mov_b32_e32 v3, 0
	s_and_saveexec_b64 s[10:11], s[8:9]
	s_cbranch_execz .LBB56_19
; %bb.18:                               ;   in Loop: Header=BB56_7 Depth=2
	v_ashrrev_i32_e32 v5, 31, v4
	v_lshlrev_b64 v[2:3], 3, v[4:5]
	v_add_co_u32_e64 v2, s[8:9], v24, v2
	v_addc_co_u32_e64 v3, s[8:9], v25, v3, s[8:9]
	flat_load_dwordx2 v[2:3], v[2:3]
.LBB56_19:                              ;   in Loop: Header=BB56_7 Depth=2
	s_or_b64 exec, exec, s[10:11]
	v_add_u32_e32 v4, v21, v19
	s_waitcnt vmcnt(0) lgkmcnt(0)
	ds_write_b64 v4, v[2:3]
	s_waitcnt lgkmcnt(0)
	s_barrier
	s_and_saveexec_b64 s[8:9], s[16:17]
	s_cbranch_execz .LBB56_6
; %bb.20:                               ;   in Loop: Header=BB56_7 Depth=2
	ds_read2_b64 v[2:5], v21 offset1:32
	ds_read_b128 v[6:9], v19
	ds_read_b128 v[26:29], v19 offset:16
	ds_read_b128 v[30:33], v19 offset:32
	;; [unrolled: 1-line block ×3, first 2 shown]
	s_waitcnt lgkmcnt(3)
	v_mul_f32_e32 v38, v3, v7
	v_fma_f32 v38, v2, v6, -v38
	v_mul_f32_e32 v7, v2, v7
	v_mul_f32_e32 v2, v5, v9
	;; [unrolled: 1-line block ×3, first 2 shown]
	v_fmac_f32_e32 v7, v3, v6
	v_fma_f32 v6, v4, v8, -v2
	v_fmac_f32_e32 v9, v5, v8
	ds_read2_b64 v[2:5], v21 offset0:64 offset1:96
	v_add_f32_e32 v8, 0, v38
	v_add_f32_e32 v6, v8, v6
	;; [unrolled: 1-line block ×4, first 2 shown]
	s_waitcnt lgkmcnt(0)
	v_mul_f32_e32 v8, v3, v27
	v_fma_f32 v8, v2, v26, -v8
	v_mul_f32_e32 v2, v2, v27
	v_fmac_f32_e32 v2, v3, v26
	v_add_f32_e32 v3, v6, v8
	v_mul_f32_e32 v6, v5, v29
	v_add_f32_e32 v2, v7, v2
	v_fma_f32 v26, v4, v28, -v6
	ds_read2_b64 v[6:9], v21 offset0:128 offset1:160
	v_mul_f32_e32 v4, v4, v29
	v_fmac_f32_e32 v4, v5, v28
	v_add_f32_e32 v2, v2, v4
	v_add_f32_e32 v3, v3, v26
	s_waitcnt lgkmcnt(0)
	v_mul_f32_e32 v5, v6, v31
	v_mul_f32_e32 v4, v7, v31
	v_fmac_f32_e32 v5, v7, v30
	v_fma_f32 v4, v6, v30, -v4
	v_add_f32_e32 v7, v2, v5
	v_mul_f32_e32 v2, v9, v33
	v_add_f32_e32 v6, v3, v4
	v_fma_f32 v26, v8, v32, -v2
	ds_read2_b64 v[2:5], v21 offset0:192 offset1:224
	v_mul_f32_e32 v8, v8, v33
	v_fmac_f32_e32 v8, v9, v32
	v_add_f32_e32 v7, v7, v8
	v_add_f32_e32 v6, v6, v26
	s_waitcnt lgkmcnt(0)
	v_mul_f32_e32 v8, v3, v35
	v_fma_f32 v8, v2, v34, -v8
	v_mul_f32_e32 v2, v2, v35
	v_fmac_f32_e32 v2, v3, v34
	v_add_f32_e32 v3, v6, v8
	v_mul_f32_e32 v6, v5, v37
	v_add_u32_e32 v34, 0x800, v21
	v_add_f32_e32 v2, v7, v2
	v_fma_f32 v30, v4, v36, -v6
	ds_read_b128 v[6:9], v19 offset:64
	ds_read2_b64 v[26:29], v34 offset1:32
	v_mul_f32_e32 v4, v4, v37
	v_fmac_f32_e32 v4, v5, v36
	v_add_f32_e32 v30, v3, v30
	v_add_f32_e32 v31, v2, v4
	ds_read_b128 v[2:5], v19 offset:80
	s_waitcnt lgkmcnt(1)
	v_mul_f32_e32 v32, v27, v7
	v_mul_f32_e32 v7, v26, v7
	v_fma_f32 v32, v26, v6, -v32
	v_fmac_f32_e32 v7, v27, v6
	v_add_f32_e32 v6, v30, v32
	v_add_f32_e32 v7, v31, v7
	ds_read2_b64 v[30:33], v34 offset0:64 offset1:96
	v_mul_f32_e32 v26, v29, v9
	v_mul_f32_e32 v9, v28, v9
	v_fma_f32 v26, v28, v8, -v26
	v_fmac_f32_e32 v9, v29, v8
	s_waitcnt lgkmcnt(0)
	v_mul_f32_e32 v8, v31, v3
	v_add_f32_e32 v6, v6, v26
	v_fma_f32 v8, v30, v2, -v8
	v_mul_f32_e32 v3, v30, v3
	v_add_f32_e32 v7, v7, v9
	v_fmac_f32_e32 v3, v31, v2
	v_add_f32_e32 v2, v6, v8
	v_mul_f32_e32 v6, v33, v5
	v_add_f32_e32 v3, v7, v3
	v_fma_f32 v9, v32, v4, -v6
	v_mul_f32_e32 v30, v32, v5
	ds_read_b128 v[5:8], v19 offset:96
	ds_read2_b64 v[26:29], v34 offset0:128 offset1:160
	v_fmac_f32_e32 v30, v33, v4
	v_add_f32_e32 v2, v2, v9
	v_add_f32_e32 v3, v3, v30
	ds_read_b128 v[30:33], v19 offset:112
	s_waitcnt lgkmcnt(1)
	v_mul_f32_e32 v4, v27, v6
	v_fma_f32 v4, v26, v5, -v4
	v_mul_f32_e32 v6, v26, v6
	v_fmac_f32_e32 v6, v27, v5
	v_add_f32_e32 v9, v2, v4
	v_mul_f32_e32 v2, v29, v8
	v_add_f32_e32 v6, v3, v6
	v_fma_f32 v26, v28, v7, -v2
	ds_read2_b64 v[2:5], v34 offset0:192 offset1:224
	v_mul_f32_e32 v8, v28, v8
	v_fmac_f32_e32 v8, v29, v7
	v_add_f32_e32 v6, v6, v8
	v_add_f32_e32 v7, v9, v26
	s_waitcnt lgkmcnt(0)
	v_mul_f32_e32 v8, v3, v31
	v_fma_f32 v8, v2, v30, -v8
	v_mul_f32_e32 v2, v2, v31
	v_fmac_f32_e32 v2, v3, v30
	v_add_f32_e32 v2, v6, v2
	v_mul_f32_e32 v6, v5, v33
	v_add_u32_e32 v26, 0x1000, v21
	v_add_f32_e32 v3, v7, v8
	v_fma_f32 v31, v4, v32, -v6
	ds_read_b128 v[6:9], v19 offset:128
	ds_read2_b64 v[27:30], v26 offset1:32
	v_mul_f32_e32 v4, v4, v33
	v_fmac_f32_e32 v4, v5, v32
	v_add_f32_e32 v3, v3, v31
	ds_read_b128 v[31:34], v19 offset:144
	ds_read2_b64 v[35:38], v26 offset0:64 offset1:96
	s_waitcnt lgkmcnt(2)
	v_mul_f32_e32 v5, v27, v7
	v_add_f32_e32 v2, v2, v4
	v_mul_f32_e32 v4, v28, v7
	v_fmac_f32_e32 v5, v28, v6
	v_fma_f32 v4, v27, v6, -v4
	v_add_f32_e32 v2, v2, v5
	v_mul_f32_e32 v5, v29, v9
	v_add_f32_e32 v3, v3, v4
	v_mul_f32_e32 v4, v30, v9
	v_fmac_f32_e32 v5, v30, v8
	v_fma_f32 v4, v29, v8, -v4
	v_add_f32_e32 v2, v2, v5
	s_waitcnt lgkmcnt(0)
	v_mul_f32_e32 v5, v35, v32
	v_add_f32_e32 v3, v3, v4
	v_mul_f32_e32 v4, v36, v32
	v_fmac_f32_e32 v5, v36, v31
	v_fma_f32 v4, v35, v31, -v4
	v_add_f32_e32 v28, v2, v5
	v_mul_f32_e32 v2, v38, v34
	v_add_f32_e32 v27, v3, v4
	v_fma_f32 v29, v37, v33, -v2
	ds_read_b128 v[2:5], v19 offset:160
	ds_read2_b64 v[6:9], v26 offset0:128 offset1:160
	flat_load_dwordx2 v[35:36], v[13:14]
	v_mul_f32_e32 v30, v37, v34
	v_fmac_f32_e32 v30, v38, v33
	v_add_f32_e32 v31, v27, v29
	s_waitcnt lgkmcnt(0)
	v_mul_f32_e32 v33, v7, v3
	v_mul_f32_e32 v3, v6, v3
	v_add_f32_e32 v32, v28, v30
	v_fma_f32 v33, v6, v2, -v33
	v_fmac_f32_e32 v3, v7, v2
	ds_read_b128 v[27:30], v19 offset:176
	v_add_f32_e32 v2, v31, v33
	v_add_f32_e32 v3, v32, v3
	ds_read2_b64 v[31:34], v26 offset0:192 offset1:224
	v_mul_f32_e32 v6, v9, v5
	v_mul_f32_e32 v5, v8, v5
	v_fma_f32 v6, v8, v4, -v6
	v_fmac_f32_e32 v5, v9, v4
	s_waitcnt lgkmcnt(0)
	v_mul_f32_e32 v4, v32, v28
	v_add_f32_e32 v2, v2, v6
	v_add_f32_e32 v3, v3, v5
	v_fma_f32 v4, v31, v27, -v4
	v_mul_f32_e32 v5, v31, v28
	v_fmac_f32_e32 v5, v32, v27
	v_add_f32_e32 v26, v2, v4
	v_mul_f32_e32 v2, v34, v30
	v_add_u32_e32 v37, 0x1800, v21
	v_add_f32_e32 v27, v3, v5
	v_fma_f32 v28, v33, v29, -v2
	ds_read_b128 v[2:5], v19 offset:192
	ds_read2_b64 v[6:9], v37 offset1:32
	v_mul_f32_e32 v30, v33, v30
	v_fmac_f32_e32 v30, v34, v29
	v_add_f32_e32 v31, v26, v28
	v_add_f32_e32 v30, v27, v30
	ds_read_b128 v[26:29], v19 offset:208
	s_waitcnt lgkmcnt(0)
	v_mul_f32_e32 v32, v7, v3
	v_mul_f32_e32 v3, v6, v3
	v_fma_f32 v32, v6, v2, -v32
	v_fmac_f32_e32 v3, v7, v2
	v_add_f32_e32 v2, v31, v32
	v_add_f32_e32 v3, v30, v3
	ds_read2_b64 v[30:33], v37 offset0:64 offset1:96
	v_mul_f32_e32 v6, v9, v5
	v_mul_f32_e32 v5, v8, v5
	v_fma_f32 v6, v8, v4, -v6
	v_fmac_f32_e32 v5, v9, v4
	s_waitcnt lgkmcnt(0)
	v_mul_f32_e32 v4, v31, v27
	v_add_f32_e32 v2, v2, v6
	v_add_f32_e32 v3, v3, v5
	v_fma_f32 v4, v30, v26, -v4
	v_mul_f32_e32 v5, v30, v27
	v_fmac_f32_e32 v5, v31, v26
	v_add_f32_e32 v26, v2, v4
	v_mul_f32_e32 v2, v33, v29
	v_add_f32_e32 v27, v3, v5
	v_fma_f32 v30, v32, v28, -v2
	ds_read_b128 v[2:5], v19 offset:224
	ds_read2_b64 v[6:9], v37 offset0:128 offset1:160
	v_mul_f32_e32 v29, v32, v29
	v_fmac_f32_e32 v29, v33, v28
	v_add_f32_e32 v30, v26, v30
	v_add_f32_e32 v31, v27, v29
	s_waitcnt lgkmcnt(0)
	v_mul_f32_e32 v32, v7, v3
	v_mul_f32_e32 v3, v6, v3
	v_fma_f32 v32, v6, v2, -v32
	v_fmac_f32_e32 v3, v7, v2
	ds_read_b128 v[26:29], v19 offset:240
	v_add_f32_e32 v2, v30, v32
	v_add_f32_e32 v3, v31, v3
	ds_read2_b64 v[30:33], v37 offset0:192 offset1:224
	v_mul_f32_e32 v6, v9, v5
	v_mul_f32_e32 v5, v8, v5
	v_fmac_f32_e32 v5, v9, v4
	v_fma_f32 v6, v8, v4, -v6
	v_add_f32_e32 v3, v3, v5
	s_waitcnt lgkmcnt(0)
	v_mul_f32_e32 v4, v31, v27
	v_mul_f32_e32 v5, v30, v27
	v_add_f32_e32 v2, v2, v6
	v_fma_f32 v4, v30, v26, -v4
	v_fmac_f32_e32 v5, v31, v26
	v_add_f32_e32 v2, v2, v4
	v_add_f32_e32 v3, v3, v5
	v_mul_f32_e32 v4, v33, v29
	v_mul_f32_e32 v5, v32, v29
	v_fma_f32 v4, v32, v28, -v4
	v_fmac_f32_e32 v5, v33, v28
	v_add_f32_e32 v2, v2, v4
	v_add_f32_e32 v3, v3, v5
	v_mul_f32_e32 v4, s25, v3
	v_mul_f32_e32 v5, s25, v2
	v_fma_f32 v4, s24, v2, -v4
	v_fmac_f32_e32 v5, s24, v3
	s_waitcnt vmcnt(0)
	v_add_f32_e32 v2, v35, v4
	v_add_f32_e32 v3, v36, v5
	flat_store_dwordx2 v[13:14], v[2:3]
	s_branch .LBB56_6
.LBB56_21:
	s_endpgm
	.section	.rodata,"a",@progbits
	.p2align	6, 0x0
	.amdhsa_kernel _ZL24rocblas_symm_hemm_kernelILb1ELb0ELi32EPK19rocblas_complex_numIfEPKS3_PKPS1_EvbiiT2_T3_lllSA_lllT4_llli
		.amdhsa_group_segment_fixed_size 16384
		.amdhsa_private_segment_fixed_size 0
		.amdhsa_kernarg_size 384
		.amdhsa_user_sgpr_count 6
		.amdhsa_user_sgpr_private_segment_buffer 1
		.amdhsa_user_sgpr_dispatch_ptr 0
		.amdhsa_user_sgpr_queue_ptr 0
		.amdhsa_user_sgpr_kernarg_segment_ptr 1
		.amdhsa_user_sgpr_dispatch_id 0
		.amdhsa_user_sgpr_flat_scratch_init 0
		.amdhsa_user_sgpr_private_segment_size 0
		.amdhsa_uses_dynamic_stack 0
		.amdhsa_system_sgpr_private_segment_wavefront_offset 0
		.amdhsa_system_sgpr_workgroup_id_x 1
		.amdhsa_system_sgpr_workgroup_id_y 1
		.amdhsa_system_sgpr_workgroup_id_z 1
		.amdhsa_system_sgpr_workgroup_info 0
		.amdhsa_system_vgpr_workitem_id 1
		.amdhsa_next_free_vgpr 39
		.amdhsa_next_free_sgpr 61
		.amdhsa_reserve_vcc 1
		.amdhsa_reserve_flat_scratch 0
		.amdhsa_float_round_mode_32 0
		.amdhsa_float_round_mode_16_64 0
		.amdhsa_float_denorm_mode_32 3
		.amdhsa_float_denorm_mode_16_64 3
		.amdhsa_dx10_clamp 1
		.amdhsa_ieee_mode 1
		.amdhsa_fp16_overflow 0
		.amdhsa_exception_fp_ieee_invalid_op 0
		.amdhsa_exception_fp_denorm_src 0
		.amdhsa_exception_fp_ieee_div_zero 0
		.amdhsa_exception_fp_ieee_overflow 0
		.amdhsa_exception_fp_ieee_underflow 0
		.amdhsa_exception_fp_ieee_inexact 0
		.amdhsa_exception_int_div_zero 0
	.end_amdhsa_kernel
	.section	.text._ZL24rocblas_symm_hemm_kernelILb1ELb0ELi32EPK19rocblas_complex_numIfEPKS3_PKPS1_EvbiiT2_T3_lllSA_lllT4_llli,"axG",@progbits,_ZL24rocblas_symm_hemm_kernelILb1ELb0ELi32EPK19rocblas_complex_numIfEPKS3_PKPS1_EvbiiT2_T3_lllSA_lllT4_llli,comdat
.Lfunc_end56:
	.size	_ZL24rocblas_symm_hemm_kernelILb1ELb0ELi32EPK19rocblas_complex_numIfEPKS3_PKPS1_EvbiiT2_T3_lllSA_lllT4_llli, .Lfunc_end56-_ZL24rocblas_symm_hemm_kernelILb1ELb0ELi32EPK19rocblas_complex_numIfEPKS3_PKPS1_EvbiiT2_T3_lllSA_lllT4_llli
                                        ; -- End function
	.set _ZL24rocblas_symm_hemm_kernelILb1ELb0ELi32EPK19rocblas_complex_numIfEPKS3_PKPS1_EvbiiT2_T3_lllSA_lllT4_llli.num_vgpr, 39
	.set _ZL24rocblas_symm_hemm_kernelILb1ELb0ELi32EPK19rocblas_complex_numIfEPKS3_PKPS1_EvbiiT2_T3_lllSA_lllT4_llli.num_agpr, 0
	.set _ZL24rocblas_symm_hemm_kernelILb1ELb0ELi32EPK19rocblas_complex_numIfEPKS3_PKPS1_EvbiiT2_T3_lllSA_lllT4_llli.numbered_sgpr, 32
	.set _ZL24rocblas_symm_hemm_kernelILb1ELb0ELi32EPK19rocblas_complex_numIfEPKS3_PKPS1_EvbiiT2_T3_lllSA_lllT4_llli.num_named_barrier, 0
	.set _ZL24rocblas_symm_hemm_kernelILb1ELb0ELi32EPK19rocblas_complex_numIfEPKS3_PKPS1_EvbiiT2_T3_lllSA_lllT4_llli.private_seg_size, 0
	.set _ZL24rocblas_symm_hemm_kernelILb1ELb0ELi32EPK19rocblas_complex_numIfEPKS3_PKPS1_EvbiiT2_T3_lllSA_lllT4_llli.uses_vcc, 1
	.set _ZL24rocblas_symm_hemm_kernelILb1ELb0ELi32EPK19rocblas_complex_numIfEPKS3_PKPS1_EvbiiT2_T3_lllSA_lllT4_llli.uses_flat_scratch, 0
	.set _ZL24rocblas_symm_hemm_kernelILb1ELb0ELi32EPK19rocblas_complex_numIfEPKS3_PKPS1_EvbiiT2_T3_lllSA_lllT4_llli.has_dyn_sized_stack, 0
	.set _ZL24rocblas_symm_hemm_kernelILb1ELb0ELi32EPK19rocblas_complex_numIfEPKS3_PKPS1_EvbiiT2_T3_lllSA_lllT4_llli.has_recursion, 0
	.set _ZL24rocblas_symm_hemm_kernelILb1ELb0ELi32EPK19rocblas_complex_numIfEPKS3_PKPS1_EvbiiT2_T3_lllSA_lllT4_llli.has_indirect_call, 0
	.section	.AMDGPU.csdata,"",@progbits
; Kernel info:
; codeLenInByte = 2280
; TotalNumSgprs: 36
; NumVgprs: 39
; ScratchSize: 0
; MemoryBound: 0
; FloatMode: 240
; IeeeMode: 1
; LDSByteSize: 16384 bytes/workgroup (compile time only)
; SGPRBlocks: 8
; VGPRBlocks: 9
; NumSGPRsForWavesPerEU: 65
; NumVGPRsForWavesPerEU: 39
; Occupancy: 6
; WaveLimiterHint : 1
; COMPUTE_PGM_RSRC2:SCRATCH_EN: 0
; COMPUTE_PGM_RSRC2:USER_SGPR: 6
; COMPUTE_PGM_RSRC2:TRAP_HANDLER: 0
; COMPUTE_PGM_RSRC2:TGID_X_EN: 1
; COMPUTE_PGM_RSRC2:TGID_Y_EN: 1
; COMPUTE_PGM_RSRC2:TGID_Z_EN: 1
; COMPUTE_PGM_RSRC2:TIDIG_COMP_CNT: 1
	.section	.text._ZL24rocblas_symm_hemm_kernelILb1ELb1ELi32EPK19rocblas_complex_numIfEPKS3_PKPS1_EvbiiT2_T3_lllSA_lllT4_llli,"axG",@progbits,_ZL24rocblas_symm_hemm_kernelILb1ELb1ELi32EPK19rocblas_complex_numIfEPKS3_PKPS1_EvbiiT2_T3_lllSA_lllT4_llli,comdat
	.globl	_ZL24rocblas_symm_hemm_kernelILb1ELb1ELi32EPK19rocblas_complex_numIfEPKS3_PKPS1_EvbiiT2_T3_lllSA_lllT4_llli ; -- Begin function _ZL24rocblas_symm_hemm_kernelILb1ELb1ELi32EPK19rocblas_complex_numIfEPKS3_PKPS1_EvbiiT2_T3_lllSA_lllT4_llli
	.p2align	8
	.type	_ZL24rocblas_symm_hemm_kernelILb1ELb1ELi32EPK19rocblas_complex_numIfEPKS3_PKPS1_EvbiiT2_T3_lllSA_lllT4_llli,@function
_ZL24rocblas_symm_hemm_kernelILb1ELb1ELi32EPK19rocblas_complex_numIfEPKS3_PKPS1_EvbiiT2_T3_lllSA_lllT4_llli: ; @_ZL24rocblas_symm_hemm_kernelILb1ELb1ELi32EPK19rocblas_complex_numIfEPKS3_PKPS1_EvbiiT2_T3_lllSA_lllT4_llli
; %bb.0:
	s_load_dwordx8 s[12:19], s[4:5], 0x10
	s_waitcnt lgkmcnt(0)
	s_load_dwordx2 s[10:11], s[12:13], 0x0
	s_waitcnt lgkmcnt(0)
	v_cmp_eq_f32_e64 s[0:1], s10, 0
	v_cmp_eq_f32_e64 s[2:3], s11, 0
	s_and_b64 s[0:1], s[0:1], s[2:3]
	s_and_b64 vcc, exec, s[0:1]
	s_cbranch_vccnz .LBB57_21
; %bb.1:
	s_load_dwordx4 s[20:23], s[4:5], 0x0
	s_waitcnt lgkmcnt(0)
	s_add_i32 s0, s22, -1
	s_ashr_i32 s1, s0, 31
	s_lshr_b32 s1, s1, 27
	s_add_i32 s0, s0, s1
	s_ashr_i32 s23, s0, 5
	s_cmp_gt_i32 s7, s23
	s_cbranch_scc1 .LBB57_21
; %bb.2:
	s_mov_b32 s9, 0
	s_lshl_b64 s[8:9], s[8:9], 3
	s_add_u32 s24, s14, s8
	s_addc_u32 s25, s15, s9
	s_load_dwordx2 s[26:27], s[24:25], 0x0
	s_load_dwordx4 s[0:3], s[4:5], 0x38
	s_load_dwordx2 s[12:13], s[4:5], 0x48
	s_load_dwordx4 s[28:31], s[4:5], 0x58
	s_load_dwordx2 s[14:15], s[4:5], 0x68
	s_lshl_b64 s[16:17], s[16:17], 3
	s_waitcnt lgkmcnt(0)
	s_add_u32 s26, s26, s16
	s_addc_u32 s27, s27, s17
	s_add_u32 s0, s0, s8
	s_addc_u32 s1, s1, s9
	;; [unrolled: 2-line block ×3, first 2 shown]
	s_load_dwordx2 s[16:17], s[8:9], 0x0
	s_load_dwordx2 s[24:25], s[0:1], 0x0
	s_bitcmp1_b32 s20, 0
	s_cselect_b64 s[0:1], -1, 0
	s_lshl_b64 s[8:9], s[30:31], 3
	s_waitcnt lgkmcnt(0)
	s_add_u32 s16, s16, s8
	s_addc_u32 s17, s17, s9
	s_lshl_b64 s[2:3], s[2:3], 3
	v_lshl_add_u32 v2, s6, 5, v0
	s_add_u32 s20, s24, s2
	v_ashrrev_i32_e32 v3, 31, v2
	s_addc_u32 s24, s25, s3
	v_cmp_gt_i32_e64 s[2:3], s21, v2
	v_lshlrev_b64 v[2:3], 3, v[2:3]
	s_load_dword s6, s[4:5], 0x84
	v_mov_b32_e32 v4, s24
	v_add_co_u32_e32 v15, vcc, s20, v2
	s_cmp_gt_i32 s22, 0
	v_addc_co_u32_e32 v16, vcc, v4, v3, vcc
	s_cselect_b64 s[8:9], -1, 0
	v_lshlrev_b32_e32 v17, 8, v0
	v_lshlrev_b32_e32 v4, 3, v1
	v_add_co_u32_e32 v21, vcc, s16, v2
	v_lshl_add_u32 v2, s7, 5, v1
	v_add_u32_e32 v18, v17, v4
	v_or_b32_e32 v19, 0x2000, v4
	v_mov_b32_e32 v4, s17
	v_sub_u32_e32 v23, 0, v2
	v_cndmask_b32_e64 v2, 0, 1, s[8:9]
	v_add_u32_e32 v20, v19, v17
	v_addc_co_u32_e32 v22, vcc, v4, v3, vcc
	s_waitcnt lgkmcnt(0)
	s_lshl_b32 s28, s6, 5
	v_cmp_ne_u32_e64 s[4:5], 1, v2
	s_branch .LBB57_4
.LBB57_3:                               ;   in Loop: Header=BB57_4 Depth=1
	s_add_i32 s7, s7, s6
	s_cmp_gt_i32 s7, s23
	v_subrev_u32_e32 v23, s28, v23
	s_cbranch_scc1 .LBB57_21
.LBB57_4:                               ; =>This Loop Header: Depth=1
                                        ;     Child Loop BB57_7 Depth 2
	s_and_b64 vcc, exec, s[4:5]
	s_cbranch_vccnz .LBB57_3
; %bb.5:                                ;   in Loop: Header=BB57_4 Depth=1
	v_lshl_add_u32 v10, s7, 5, v1
	v_ashrrev_i32_e32 v11, 31, v10
	v_mul_lo_u32 v4, s19, v10
	v_mad_u64_u32 v[2:3], s[8:9], s18, v10, 0
	v_mul_lo_u32 v5, s18, v11
	v_mul_lo_u32 v7, s14, v11
	v_mul_lo_u32 v8, s15, v10
	v_mov_b32_e32 v6, s27
	v_add3_u32 v3, v3, v5, v4
	v_lshlrev_b64 v[2:3], 3, v[2:3]
	v_mov_b32_e32 v4, s27
	v_add_co_u32_e32 v24, vcc, s26, v2
	v_addc_co_u32_e32 v25, vcc, v4, v3, vcc
	v_mad_u64_u32 v[4:5], s[8:9], s14, v10, 0
	v_lshlrev_b64 v[2:3], 3, v[10:11]
	v_add_u32_e32 v28, v0, v23
	v_add_co_u32_e32 v26, vcc, s26, v2
	v_add3_u32 v5, v5, v7, v8
	v_addc_co_u32_e32 v27, vcc, v6, v3, vcc
	v_lshlrev_b64 v[4:5], 3, v[4:5]
	v_cmp_gt_i32_e32 vcc, s22, v10
	s_and_b64 s[16:17], s[2:3], vcc
	v_add_co_u32_e32 v11, vcc, v21, v4
	v_addc_co_u32_e32 v12, vcc, v22, v5, vcc
	v_add_co_u32_e32 v13, vcc, v24, v2
	v_addc_co_u32_e32 v14, vcc, v25, v3, vcc
	s_mov_b32 s29, 0
	s_branch .LBB57_7
.LBB57_6:                               ;   in Loop: Header=BB57_7 Depth=2
	s_or_b64 exec, exec, s[8:9]
	s_add_i32 s29, s29, 32
	s_cmp_ge_i32 s29, s22
	s_waitcnt vmcnt(0) lgkmcnt(0)
	s_barrier
	s_cbranch_scc1 .LBB57_3
.LBB57_7:                               ;   Parent Loop BB57_4 Depth=1
                                        ; =>  This Inner Loop Header: Depth=2
	v_add_u32_e32 v5, s29, v1
	v_cmp_gt_i32_e32 vcc, s22, v5
	s_and_b64 s[20:21], s[2:3], vcc
	v_mov_b32_e32 v2, 0
	v_mov_b32_e32 v3, 0
	;; [unrolled: 1-line block ×3, first 2 shown]
	s_and_saveexec_b64 s[8:9], s[20:21]
	s_cbranch_execz .LBB57_9
; %bb.8:                                ;   in Loop: Header=BB57_7 Depth=2
	v_ashrrev_i32_e32 v6, 31, v5
	v_mul_lo_u32 v7, s13, v5
	v_mad_u64_u32 v[3:4], s[20:21], s12, v5, 0
	v_mul_lo_u32 v5, s12, v6
	v_add3_u32 v4, v4, v5, v7
	v_lshlrev_b64 v[3:4], 3, v[3:4]
	v_add_co_u32_e32 v3, vcc, v15, v3
	v_addc_co_u32_e32 v4, vcc, v16, v4, vcc
	flat_load_dwordx2 v[3:4], v[3:4]
.LBB57_9:                               ;   in Loop: Header=BB57_7 Depth=2
	s_or_b64 exec, exec, s[8:9]
	s_waitcnt vmcnt(0) lgkmcnt(0)
	ds_write_b64 v18, v[3:4]
	v_add_u32_e32 v4, s29, v0
	v_cndmask_b32_e64 v3, v10, v4, s[0:1]
	v_cndmask_b32_e64 v5, v4, v10, s[0:1]
	v_cmp_gt_i32_e64 s[8:9], v3, v5
	v_cmp_le_i32_e32 vcc, v3, v5
	v_cndmask_b32_e64 v3, v4, v10, s[8:9]
	v_cndmask_b32_e64 v5, v10, v4, s[8:9]
	v_max_i32_e32 v3, v3, v5
	v_cmp_gt_i32_e64 s[8:9], s22, v3
	v_mov_b32_e32 v3, 0
	s_and_saveexec_b64 s[20:21], s[8:9]
	s_cbranch_execz .LBB57_19
; %bb.10:                               ;   in Loop: Header=BB57_7 Depth=2
                                        ; implicit-def: $vgpr3
	s_and_saveexec_b64 s[8:9], vcc
	s_xor_b64 s[8:9], exec, s[8:9]
	s_cbranch_execz .LBB57_16
; %bb.11:                               ;   in Loop: Header=BB57_7 Depth=2
	v_add_u32_e32 v2, s29, v28
	v_cmp_ne_u32_e32 vcc, 0, v2
                                        ; implicit-def: $vgpr3
	s_and_saveexec_b64 s[24:25], vcc
	s_xor_b64 s[24:25], exec, s[24:25]
	s_cbranch_execz .LBB57_13
; %bb.12:                               ;   in Loop: Header=BB57_7 Depth=2
	v_ashrrev_i32_e32 v5, 31, v4
	v_lshlrev_b64 v[2:3], 3, v[4:5]
	v_add_co_u32_e32 v2, vcc, v24, v2
	v_addc_co_u32_e32 v3, vcc, v25, v3, vcc
	flat_load_dwordx2 v[2:3], v[2:3]
.LBB57_13:                              ;   in Loop: Header=BB57_7 Depth=2
	s_andn2_saveexec_b64 s[24:25], s[24:25]
	s_cbranch_execz .LBB57_15
; %bb.14:                               ;   in Loop: Header=BB57_7 Depth=2
	s_waitcnt vmcnt(0) lgkmcnt(0)
	flat_load_dword v2, v[13:14]
	v_mov_b32_e32 v3, 0
.LBB57_15:                              ;   in Loop: Header=BB57_7 Depth=2
	s_or_b64 exec, exec, s[24:25]
                                        ; implicit-def: $vgpr4
.LBB57_16:                              ;   in Loop: Header=BB57_7 Depth=2
	s_andn2_saveexec_b64 s[8:9], s[8:9]
	s_cbranch_execz .LBB57_18
; %bb.17:                               ;   in Loop: Header=BB57_7 Depth=2
	v_ashrrev_i32_e32 v5, 31, v4
	v_mul_lo_u32 v6, s19, v4
	s_waitcnt vmcnt(0) lgkmcnt(0)
	v_mad_u64_u32 v[2:3], s[24:25], s18, v4, 0
	v_mul_lo_u32 v4, s18, v5
	v_add3_u32 v3, v3, v4, v6
	v_lshlrev_b64 v[2:3], 3, v[2:3]
	v_add_co_u32_e32 v2, vcc, v26, v2
	v_addc_co_u32_e32 v3, vcc, v27, v3, vcc
	flat_load_dwordx2 v[2:3], v[2:3]
	s_waitcnt vmcnt(0) lgkmcnt(0)
	v_xor_b32_e32 v3, 0x80000000, v3
.LBB57_18:                              ;   in Loop: Header=BB57_7 Depth=2
	s_or_b64 exec, exec, s[8:9]
.LBB57_19:                              ;   in Loop: Header=BB57_7 Depth=2
	s_or_b64 exec, exec, s[20:21]
	s_waitcnt vmcnt(0) lgkmcnt(0)
	ds_write_b64 v20, v[2:3]
	s_waitcnt lgkmcnt(0)
	s_barrier
	s_and_saveexec_b64 s[8:9], s[16:17]
	s_cbranch_execz .LBB57_6
; %bb.20:                               ;   in Loop: Header=BB57_7 Depth=2
	ds_read2_b64 v[2:5], v19 offset1:32
	ds_read_b128 v[6:9], v17
	ds_read_b128 v[29:32], v17 offset:16
	ds_read_b128 v[33:36], v17 offset:32
	;; [unrolled: 1-line block ×3, first 2 shown]
	s_waitcnt lgkmcnt(3)
	v_mul_f32_e32 v41, v3, v7
	v_fma_f32 v41, v2, v6, -v41
	v_mul_f32_e32 v7, v2, v7
	v_mul_f32_e32 v2, v5, v9
	;; [unrolled: 1-line block ×3, first 2 shown]
	v_fmac_f32_e32 v7, v3, v6
	v_fma_f32 v6, v4, v8, -v2
	v_fmac_f32_e32 v9, v5, v8
	ds_read2_b64 v[2:5], v19 offset0:64 offset1:96
	v_add_f32_e32 v8, 0, v41
	v_add_f32_e32 v6, v8, v6
	;; [unrolled: 1-line block ×4, first 2 shown]
	s_waitcnt lgkmcnt(0)
	v_mul_f32_e32 v8, v3, v30
	v_fma_f32 v8, v2, v29, -v8
	v_mul_f32_e32 v2, v2, v30
	v_fmac_f32_e32 v2, v3, v29
	v_add_f32_e32 v3, v6, v8
	v_mul_f32_e32 v6, v5, v32
	v_add_f32_e32 v2, v7, v2
	v_fma_f32 v29, v4, v31, -v6
	ds_read2_b64 v[6:9], v19 offset0:128 offset1:160
	v_mul_f32_e32 v4, v4, v32
	v_fmac_f32_e32 v4, v5, v31
	v_add_f32_e32 v2, v2, v4
	v_add_f32_e32 v3, v3, v29
	s_waitcnt lgkmcnt(0)
	v_mul_f32_e32 v5, v6, v34
	v_mul_f32_e32 v4, v7, v34
	v_fmac_f32_e32 v5, v7, v33
	v_fma_f32 v4, v6, v33, -v4
	v_add_f32_e32 v7, v2, v5
	v_mul_f32_e32 v2, v9, v36
	v_add_f32_e32 v6, v3, v4
	v_fma_f32 v29, v8, v35, -v2
	ds_read2_b64 v[2:5], v19 offset0:192 offset1:224
	v_mul_f32_e32 v8, v8, v36
	v_fmac_f32_e32 v8, v9, v35
	v_add_f32_e32 v7, v7, v8
	v_add_f32_e32 v6, v6, v29
	s_waitcnt lgkmcnt(0)
	v_mul_f32_e32 v8, v3, v38
	v_fma_f32 v8, v2, v37, -v8
	v_mul_f32_e32 v2, v2, v38
	v_fmac_f32_e32 v2, v3, v37
	v_add_f32_e32 v3, v6, v8
	v_mul_f32_e32 v6, v5, v40
	v_add_u32_e32 v37, 0x800, v19
	v_add_f32_e32 v2, v7, v2
	v_fma_f32 v33, v4, v39, -v6
	ds_read_b128 v[6:9], v17 offset:64
	ds_read2_b64 v[29:32], v37 offset1:32
	v_mul_f32_e32 v4, v4, v40
	v_fmac_f32_e32 v4, v5, v39
	v_add_f32_e32 v33, v3, v33
	v_add_f32_e32 v34, v2, v4
	ds_read_b128 v[2:5], v17 offset:80
	s_waitcnt lgkmcnt(1)
	v_mul_f32_e32 v35, v30, v7
	v_mul_f32_e32 v7, v29, v7
	v_fma_f32 v35, v29, v6, -v35
	v_fmac_f32_e32 v7, v30, v6
	v_add_f32_e32 v6, v33, v35
	v_add_f32_e32 v7, v34, v7
	ds_read2_b64 v[33:36], v37 offset0:64 offset1:96
	v_mul_f32_e32 v29, v32, v9
	v_mul_f32_e32 v9, v31, v9
	v_fma_f32 v29, v31, v8, -v29
	v_fmac_f32_e32 v9, v32, v8
	s_waitcnt lgkmcnt(0)
	v_mul_f32_e32 v8, v34, v3
	v_add_f32_e32 v6, v6, v29
	v_fma_f32 v8, v33, v2, -v8
	v_mul_f32_e32 v3, v33, v3
	v_add_f32_e32 v7, v7, v9
	v_fmac_f32_e32 v3, v34, v2
	v_add_f32_e32 v2, v6, v8
	v_mul_f32_e32 v6, v36, v5
	v_add_f32_e32 v3, v7, v3
	v_fma_f32 v9, v35, v4, -v6
	v_mul_f32_e32 v33, v35, v5
	ds_read_b128 v[5:8], v17 offset:96
	ds_read2_b64 v[29:32], v37 offset0:128 offset1:160
	v_fmac_f32_e32 v33, v36, v4
	v_add_f32_e32 v2, v2, v9
	v_add_f32_e32 v3, v3, v33
	ds_read_b128 v[33:36], v17 offset:112
	s_waitcnt lgkmcnt(1)
	v_mul_f32_e32 v4, v30, v6
	v_fma_f32 v4, v29, v5, -v4
	v_mul_f32_e32 v6, v29, v6
	v_fmac_f32_e32 v6, v30, v5
	v_add_f32_e32 v9, v2, v4
	v_mul_f32_e32 v2, v32, v8
	v_add_f32_e32 v6, v3, v6
	v_fma_f32 v29, v31, v7, -v2
	ds_read2_b64 v[2:5], v37 offset0:192 offset1:224
	v_mul_f32_e32 v8, v31, v8
	v_fmac_f32_e32 v8, v32, v7
	v_add_f32_e32 v6, v6, v8
	v_add_f32_e32 v7, v9, v29
	s_waitcnt lgkmcnt(0)
	v_mul_f32_e32 v8, v3, v34
	v_fma_f32 v8, v2, v33, -v8
	v_mul_f32_e32 v2, v2, v34
	v_fmac_f32_e32 v2, v3, v33
	v_add_f32_e32 v2, v6, v2
	v_mul_f32_e32 v6, v5, v36
	v_add_u32_e32 v29, 0x1000, v19
	v_add_f32_e32 v3, v7, v8
	v_fma_f32 v34, v4, v35, -v6
	ds_read_b128 v[6:9], v17 offset:128
	ds_read2_b64 v[30:33], v29 offset1:32
	v_mul_f32_e32 v4, v4, v36
	v_fmac_f32_e32 v4, v5, v35
	v_add_f32_e32 v3, v3, v34
	ds_read_b128 v[34:37], v17 offset:144
	ds_read2_b64 v[38:41], v29 offset0:64 offset1:96
	s_waitcnt lgkmcnt(2)
	v_mul_f32_e32 v5, v30, v7
	v_add_f32_e32 v2, v2, v4
	v_mul_f32_e32 v4, v31, v7
	v_fmac_f32_e32 v5, v31, v6
	v_fma_f32 v4, v30, v6, -v4
	v_add_f32_e32 v2, v2, v5
	v_mul_f32_e32 v5, v32, v9
	v_add_f32_e32 v3, v3, v4
	v_mul_f32_e32 v4, v33, v9
	v_fmac_f32_e32 v5, v33, v8
	v_fma_f32 v4, v32, v8, -v4
	v_add_f32_e32 v2, v2, v5
	s_waitcnt lgkmcnt(0)
	v_mul_f32_e32 v5, v38, v35
	v_add_f32_e32 v3, v3, v4
	v_mul_f32_e32 v4, v39, v35
	v_fmac_f32_e32 v5, v39, v34
	v_fma_f32 v4, v38, v34, -v4
	v_add_f32_e32 v31, v2, v5
	v_mul_f32_e32 v2, v41, v37
	v_add_f32_e32 v30, v3, v4
	v_fma_f32 v32, v40, v36, -v2
	ds_read_b128 v[2:5], v17 offset:160
	ds_read2_b64 v[6:9], v29 offset0:128 offset1:160
	flat_load_dwordx2 v[38:39], v[11:12]
	v_mul_f32_e32 v33, v40, v37
	v_fmac_f32_e32 v33, v41, v36
	v_add_f32_e32 v34, v30, v32
	s_waitcnt lgkmcnt(0)
	v_mul_f32_e32 v36, v7, v3
	v_mul_f32_e32 v3, v6, v3
	v_add_f32_e32 v35, v31, v33
	v_fma_f32 v36, v6, v2, -v36
	v_fmac_f32_e32 v3, v7, v2
	ds_read_b128 v[30:33], v17 offset:176
	v_add_f32_e32 v2, v34, v36
	v_add_f32_e32 v3, v35, v3
	ds_read2_b64 v[34:37], v29 offset0:192 offset1:224
	v_mul_f32_e32 v6, v9, v5
	v_mul_f32_e32 v5, v8, v5
	v_fma_f32 v6, v8, v4, -v6
	v_fmac_f32_e32 v5, v9, v4
	s_waitcnt lgkmcnt(0)
	v_mul_f32_e32 v4, v35, v31
	v_add_f32_e32 v2, v2, v6
	v_add_f32_e32 v3, v3, v5
	v_fma_f32 v4, v34, v30, -v4
	v_mul_f32_e32 v5, v34, v31
	v_fmac_f32_e32 v5, v35, v30
	v_add_f32_e32 v29, v2, v4
	v_mul_f32_e32 v2, v37, v33
	v_add_u32_e32 v40, 0x1800, v19
	v_add_f32_e32 v30, v3, v5
	v_fma_f32 v31, v36, v32, -v2
	ds_read_b128 v[2:5], v17 offset:192
	ds_read2_b64 v[6:9], v40 offset1:32
	v_mul_f32_e32 v33, v36, v33
	v_fmac_f32_e32 v33, v37, v32
	v_add_f32_e32 v34, v29, v31
	v_add_f32_e32 v33, v30, v33
	ds_read_b128 v[29:32], v17 offset:208
	s_waitcnt lgkmcnt(0)
	v_mul_f32_e32 v35, v7, v3
	v_mul_f32_e32 v3, v6, v3
	v_fma_f32 v35, v6, v2, -v35
	v_fmac_f32_e32 v3, v7, v2
	v_add_f32_e32 v2, v34, v35
	v_add_f32_e32 v3, v33, v3
	ds_read2_b64 v[33:36], v40 offset0:64 offset1:96
	v_mul_f32_e32 v6, v9, v5
	v_mul_f32_e32 v5, v8, v5
	v_fma_f32 v6, v8, v4, -v6
	v_fmac_f32_e32 v5, v9, v4
	s_waitcnt lgkmcnt(0)
	v_mul_f32_e32 v4, v34, v30
	v_add_f32_e32 v2, v2, v6
	v_add_f32_e32 v3, v3, v5
	v_fma_f32 v4, v33, v29, -v4
	v_mul_f32_e32 v5, v33, v30
	v_fmac_f32_e32 v5, v34, v29
	v_add_f32_e32 v29, v2, v4
	v_mul_f32_e32 v2, v36, v32
	v_add_f32_e32 v30, v3, v5
	v_fma_f32 v33, v35, v31, -v2
	ds_read_b128 v[2:5], v17 offset:224
	ds_read2_b64 v[6:9], v40 offset0:128 offset1:160
	v_mul_f32_e32 v32, v35, v32
	v_fmac_f32_e32 v32, v36, v31
	v_add_f32_e32 v33, v29, v33
	v_add_f32_e32 v34, v30, v32
	s_waitcnt lgkmcnt(0)
	v_mul_f32_e32 v35, v7, v3
	v_mul_f32_e32 v3, v6, v3
	v_fma_f32 v35, v6, v2, -v35
	v_fmac_f32_e32 v3, v7, v2
	ds_read_b128 v[29:32], v17 offset:240
	v_add_f32_e32 v2, v33, v35
	v_add_f32_e32 v3, v34, v3
	ds_read2_b64 v[33:36], v40 offset0:192 offset1:224
	v_mul_f32_e32 v6, v9, v5
	v_mul_f32_e32 v5, v8, v5
	v_fmac_f32_e32 v5, v9, v4
	v_fma_f32 v6, v8, v4, -v6
	v_add_f32_e32 v3, v3, v5
	s_waitcnt lgkmcnt(0)
	v_mul_f32_e32 v4, v34, v30
	v_mul_f32_e32 v5, v33, v30
	v_add_f32_e32 v2, v2, v6
	v_fma_f32 v4, v33, v29, -v4
	v_fmac_f32_e32 v5, v34, v29
	v_add_f32_e32 v2, v2, v4
	v_add_f32_e32 v3, v3, v5
	v_mul_f32_e32 v4, v36, v32
	v_mul_f32_e32 v5, v35, v32
	v_fma_f32 v4, v35, v31, -v4
	v_fmac_f32_e32 v5, v36, v31
	v_add_f32_e32 v2, v2, v4
	v_add_f32_e32 v3, v3, v5
	v_mul_f32_e32 v4, s11, v3
	v_mul_f32_e32 v5, s11, v2
	v_fma_f32 v4, s10, v2, -v4
	v_fmac_f32_e32 v5, s10, v3
	s_waitcnt vmcnt(0)
	v_add_f32_e32 v2, v38, v4
	v_add_f32_e32 v3, v39, v5
	flat_store_dwordx2 v[11:12], v[2:3]
	s_branch .LBB57_6
.LBB57_21:
	s_endpgm
	.section	.rodata,"a",@progbits
	.p2align	6, 0x0
	.amdhsa_kernel _ZL24rocblas_symm_hemm_kernelILb1ELb1ELi32EPK19rocblas_complex_numIfEPKS3_PKPS1_EvbiiT2_T3_lllSA_lllT4_llli
		.amdhsa_group_segment_fixed_size 16384
		.amdhsa_private_segment_fixed_size 0
		.amdhsa_kernarg_size 384
		.amdhsa_user_sgpr_count 6
		.amdhsa_user_sgpr_private_segment_buffer 1
		.amdhsa_user_sgpr_dispatch_ptr 0
		.amdhsa_user_sgpr_queue_ptr 0
		.amdhsa_user_sgpr_kernarg_segment_ptr 1
		.amdhsa_user_sgpr_dispatch_id 0
		.amdhsa_user_sgpr_flat_scratch_init 0
		.amdhsa_user_sgpr_private_segment_size 0
		.amdhsa_uses_dynamic_stack 0
		.amdhsa_system_sgpr_private_segment_wavefront_offset 0
		.amdhsa_system_sgpr_workgroup_id_x 1
		.amdhsa_system_sgpr_workgroup_id_y 1
		.amdhsa_system_sgpr_workgroup_id_z 1
		.amdhsa_system_sgpr_workgroup_info 0
		.amdhsa_system_vgpr_workitem_id 1
		.amdhsa_next_free_vgpr 42
		.amdhsa_next_free_sgpr 61
		.amdhsa_reserve_vcc 1
		.amdhsa_reserve_flat_scratch 0
		.amdhsa_float_round_mode_32 0
		.amdhsa_float_round_mode_16_64 0
		.amdhsa_float_denorm_mode_32 3
		.amdhsa_float_denorm_mode_16_64 3
		.amdhsa_dx10_clamp 1
		.amdhsa_ieee_mode 1
		.amdhsa_fp16_overflow 0
		.amdhsa_exception_fp_ieee_invalid_op 0
		.amdhsa_exception_fp_denorm_src 0
		.amdhsa_exception_fp_ieee_div_zero 0
		.amdhsa_exception_fp_ieee_overflow 0
		.amdhsa_exception_fp_ieee_underflow 0
		.amdhsa_exception_fp_ieee_inexact 0
		.amdhsa_exception_int_div_zero 0
	.end_amdhsa_kernel
	.section	.text._ZL24rocblas_symm_hemm_kernelILb1ELb1ELi32EPK19rocblas_complex_numIfEPKS3_PKPS1_EvbiiT2_T3_lllSA_lllT4_llli,"axG",@progbits,_ZL24rocblas_symm_hemm_kernelILb1ELb1ELi32EPK19rocblas_complex_numIfEPKS3_PKPS1_EvbiiT2_T3_lllSA_lllT4_llli,comdat
.Lfunc_end57:
	.size	_ZL24rocblas_symm_hemm_kernelILb1ELb1ELi32EPK19rocblas_complex_numIfEPKS3_PKPS1_EvbiiT2_T3_lllSA_lllT4_llli, .Lfunc_end57-_ZL24rocblas_symm_hemm_kernelILb1ELb1ELi32EPK19rocblas_complex_numIfEPKS3_PKPS1_EvbiiT2_T3_lllSA_lllT4_llli
                                        ; -- End function
	.set _ZL24rocblas_symm_hemm_kernelILb1ELb1ELi32EPK19rocblas_complex_numIfEPKS3_PKPS1_EvbiiT2_T3_lllSA_lllT4_llli.num_vgpr, 42
	.set _ZL24rocblas_symm_hemm_kernelILb1ELb1ELi32EPK19rocblas_complex_numIfEPKS3_PKPS1_EvbiiT2_T3_lllSA_lllT4_llli.num_agpr, 0
	.set _ZL24rocblas_symm_hemm_kernelILb1ELb1ELi32EPK19rocblas_complex_numIfEPKS3_PKPS1_EvbiiT2_T3_lllSA_lllT4_llli.numbered_sgpr, 32
	.set _ZL24rocblas_symm_hemm_kernelILb1ELb1ELi32EPK19rocblas_complex_numIfEPKS3_PKPS1_EvbiiT2_T3_lllSA_lllT4_llli.num_named_barrier, 0
	.set _ZL24rocblas_symm_hemm_kernelILb1ELb1ELi32EPK19rocblas_complex_numIfEPKS3_PKPS1_EvbiiT2_T3_lllSA_lllT4_llli.private_seg_size, 0
	.set _ZL24rocblas_symm_hemm_kernelILb1ELb1ELi32EPK19rocblas_complex_numIfEPKS3_PKPS1_EvbiiT2_T3_lllSA_lllT4_llli.uses_vcc, 1
	.set _ZL24rocblas_symm_hemm_kernelILb1ELb1ELi32EPK19rocblas_complex_numIfEPKS3_PKPS1_EvbiiT2_T3_lllSA_lllT4_llli.uses_flat_scratch, 0
	.set _ZL24rocblas_symm_hemm_kernelILb1ELb1ELi32EPK19rocblas_complex_numIfEPKS3_PKPS1_EvbiiT2_T3_lllSA_lllT4_llli.has_dyn_sized_stack, 0
	.set _ZL24rocblas_symm_hemm_kernelILb1ELb1ELi32EPK19rocblas_complex_numIfEPKS3_PKPS1_EvbiiT2_T3_lllSA_lllT4_llli.has_recursion, 0
	.set _ZL24rocblas_symm_hemm_kernelILb1ELb1ELi32EPK19rocblas_complex_numIfEPKS3_PKPS1_EvbiiT2_T3_lllSA_lllT4_llli.has_indirect_call, 0
	.section	.AMDGPU.csdata,"",@progbits
; Kernel info:
; codeLenInByte = 2256
; TotalNumSgprs: 36
; NumVgprs: 42
; ScratchSize: 0
; MemoryBound: 0
; FloatMode: 240
; IeeeMode: 1
; LDSByteSize: 16384 bytes/workgroup (compile time only)
; SGPRBlocks: 8
; VGPRBlocks: 10
; NumSGPRsForWavesPerEU: 65
; NumVGPRsForWavesPerEU: 42
; Occupancy: 5
; WaveLimiterHint : 1
; COMPUTE_PGM_RSRC2:SCRATCH_EN: 0
; COMPUTE_PGM_RSRC2:USER_SGPR: 6
; COMPUTE_PGM_RSRC2:TRAP_HANDLER: 0
; COMPUTE_PGM_RSRC2:TGID_X_EN: 1
; COMPUTE_PGM_RSRC2:TGID_Y_EN: 1
; COMPUTE_PGM_RSRC2:TGID_Z_EN: 1
; COMPUTE_PGM_RSRC2:TIDIG_COMP_CNT: 1
	.section	.text._ZL24rocblas_symm_hemm_kernelILb1ELb0ELi32E19rocblas_complex_numIfEPKPKS1_PKPS1_EvbiiT2_T3_lllSA_lllT4_llli,"axG",@progbits,_ZL24rocblas_symm_hemm_kernelILb1ELb0ELi32E19rocblas_complex_numIfEPKPKS1_PKPS1_EvbiiT2_T3_lllSA_lllT4_llli,comdat
	.globl	_ZL24rocblas_symm_hemm_kernelILb1ELb0ELi32E19rocblas_complex_numIfEPKPKS1_PKPS1_EvbiiT2_T3_lllSA_lllT4_llli ; -- Begin function _ZL24rocblas_symm_hemm_kernelILb1ELb0ELi32E19rocblas_complex_numIfEPKPKS1_PKPS1_EvbiiT2_T3_lllSA_lllT4_llli
	.p2align	8
	.type	_ZL24rocblas_symm_hemm_kernelILb1ELb0ELi32E19rocblas_complex_numIfEPKPKS1_PKPS1_EvbiiT2_T3_lllSA_lllT4_llli,@function
_ZL24rocblas_symm_hemm_kernelILb1ELb0ELi32E19rocblas_complex_numIfEPKPKS1_PKPS1_EvbiiT2_T3_lllSA_lllT4_llli: ; @_ZL24rocblas_symm_hemm_kernelILb1ELb0ELi32E19rocblas_complex_numIfEPKPKS1_PKPS1_EvbiiT2_T3_lllSA_lllT4_llli
; %bb.0:
	s_load_dwordx4 s[12:15], s[4:5], 0x0
	s_load_dword s28, s[4:5], 0x10
	s_waitcnt lgkmcnt(0)
	v_cmp_eq_f32_e64 s[0:1], s15, 0
	v_cmp_eq_f32_e64 s[2:3], s28, 0
	s_and_b64 s[0:1], s[0:1], s[2:3]
	s_and_b64 vcc, exec, s[0:1]
	s_cbranch_vccnz .LBB58_21
; %bb.1:
	s_add_i32 s0, s14, -1
	s_ashr_i32 s1, s0, 31
	s_lshr_b32 s1, s1, 27
	s_add_i32 s0, s0, s1
	s_ashr_i32 s29, s0, 5
	s_cmp_gt_i32 s7, s29
	s_cbranch_scc1 .LBB58_21
; %bb.2:
	s_load_dwordx4 s[0:3], s[4:5], 0x18
	s_load_dwordx2 s[16:17], s[4:5], 0x28
	s_load_dwordx4 s[20:23], s[4:5], 0x38
	s_load_dwordx2 s[18:19], s[4:5], 0x48
	s_mov_b32 s9, 0
	s_lshl_b64 s[24:25], s[8:9], 3
	s_waitcnt lgkmcnt(0)
	s_add_u32 s0, s0, s24
	s_addc_u32 s1, s1, s25
	s_add_u32 s26, s20, s24
	s_addc_u32 s27, s21, s25
	s_load_dwordx2 s[30:31], s[26:27], 0x0
	s_load_dwordx4 s[8:11], s[4:5], 0x58
	s_load_dwordx2 s[20:21], s[4:5], 0x68
	s_lshl_b64 s[22:23], s[22:23], 3
	v_lshl_add_u32 v10, s6, 5, v0
	s_waitcnt lgkmcnt(0)
	s_add_u32 s30, s30, s22
	s_addc_u32 s31, s31, s23
	s_add_u32 s8, s8, s24
	s_addc_u32 s9, s9, s25
	s_load_dwordx2 s[22:23], s[8:9], 0x0
	s_load_dwordx2 s[24:25], s[0:1], 0x0
	s_bitcmp1_b32 s12, 0
	s_cselect_b64 s[0:1], -1, 0
	s_lshl_b64 s[8:9], s[10:11], 3
	s_waitcnt lgkmcnt(0)
	s_add_u32 s8, s22, s8
	s_addc_u32 s9, s23, s9
	s_lshl_b64 s[2:3], s[2:3], 3
	s_add_u32 s10, s24, s2
	v_ashrrev_i32_e32 v11, 31, v10
	s_addc_u32 s11, s25, s3
	v_mul_lo_u32 v7, s16, v11
	v_mul_lo_u32 v8, s17, v10
	v_mad_u64_u32 v[4:5], s[2:3], s16, v10, 0
	v_lshlrev_b64 v[2:3], 3, v[10:11]
	v_mov_b32_e32 v6, s11
	v_add3_u32 v5, v5, v7, v8
	v_add_co_u32_e32 v15, vcc, s10, v2
	v_lshlrev_b64 v[4:5], 3, v[4:5]
	v_addc_co_u32_e32 v16, vcc, v6, v3, vcc
	v_add_co_u32_e32 v17, vcc, s10, v4
	v_addc_co_u32_e32 v18, vcc, v6, v5, vcc
	v_lshlrev_b32_e32 v19, 8, v0
	v_lshlrev_b32_e32 v6, 3, v1
	s_load_dword s6, s[4:5], 0x84
	s_cmp_gt_i32 s13, 0
	v_add_u32_e32 v20, v19, v6
	v_or_b32_e32 v21, 0x2000, v6
	v_mov_b32_e32 v6, s9
	v_add_co_u32_e32 v22, vcc, s8, v2
	v_addc_co_u32_e32 v23, vcc, v6, v3, vcc
	s_cselect_b64 s[4:5], -1, 0
	v_add_co_u32_e32 v11, vcc, v15, v4
	v_cndmask_b32_e64 v2, 0, 1, s[4:5]
	v_cmp_gt_i32_e64 s[2:3], s13, v10
	v_addc_co_u32_e32 v12, vcc, v16, v5, vcc
	v_cmp_ne_u32_e64 s[4:5], 1, v2
	s_branch .LBB58_4
.LBB58_3:                               ;   in Loop: Header=BB58_4 Depth=1
	s_waitcnt lgkmcnt(0)
	s_add_i32 s7, s7, s6
	s_cmp_gt_i32 s7, s29
	s_cbranch_scc1 .LBB58_21
.LBB58_4:                               ; =>This Loop Header: Depth=1
                                        ;     Child Loop BB58_7 Depth 2
	s_and_b64 vcc, exec, s[4:5]
	s_cbranch_vccnz .LBB58_3
; %bb.5:                                ;   in Loop: Header=BB58_4 Depth=1
	v_lshl_add_u32 v4, s7, 5, v1
	v_ashrrev_i32_e32 v5, 31, v4
	v_mul_lo_u32 v6, s18, v5
	v_mul_lo_u32 v7, s19, v4
	v_mad_u64_u32 v[2:3], s[8:9], s18, v4, 0
	v_cmp_gt_i32_e32 vcc, s14, v4
	v_mul_lo_u32 v8, s21, v4
	v_add3_u32 v3, v3, v6, v7
	v_mul_lo_u32 v7, s20, v5
	v_mad_u64_u32 v[4:5], s[8:9], s20, v4, 0
	v_lshlrev_b64 v[2:3], 3, v[2:3]
	v_mov_b32_e32 v6, s31
	v_add_co_u32_e64 v24, s[8:9], s30, v2
	v_add3_u32 v5, v5, v7, v8
	v_addc_co_u32_e64 v25, s[8:9], v6, v3, s[8:9]
	v_lshlrev_b64 v[2:3], 3, v[4:5]
	s_and_b64 s[22:23], s[2:3], vcc
	v_add_co_u32_e64 v13, s[8:9], v22, v2
	v_addc_co_u32_e64 v14, s[8:9], v23, v3, s[8:9]
	s_mov_b32 s12, 0
	s_branch .LBB58_7
.LBB58_6:                               ;   in Loop: Header=BB58_7 Depth=2
	s_or_b64 exec, exec, s[8:9]
	s_add_i32 s12, s12, 32
	s_cmp_ge_i32 s12, s13
	s_waitcnt vmcnt(0) lgkmcnt(0)
	s_barrier
	s_cbranch_scc1 .LBB58_3
.LBB58_7:                               ;   Parent Loop BB58_4 Depth=1
                                        ; =>  This Inner Loop Header: Depth=2
	v_add_u32_e32 v5, s12, v1
	v_cndmask_b32_e64 v2, v5, v10, s[0:1]
	v_cndmask_b32_e64 v3, v10, v5, s[0:1]
	v_cmp_gt_i32_e64 s[10:11], v2, v3
	v_cmp_le_i32_e64 s[8:9], v2, v3
	v_cndmask_b32_e64 v2, v10, v5, s[10:11]
	v_cndmask_b32_e64 v3, v5, v10, s[10:11]
	v_max_i32_e32 v2, v2, v3
	v_cmp_gt_i32_e64 s[10:11], s13, v2
	v_mov_b32_e32 v2, 0
	v_mov_b32_e32 v3, 0
	;; [unrolled: 1-line block ×3, first 2 shown]
	s_and_saveexec_b64 s[24:25], s[10:11]
	s_cbranch_execz .LBB58_17
; %bb.8:                                ;   in Loop: Header=BB58_7 Depth=2
                                        ; implicit-def: $vgpr4
	s_and_saveexec_b64 s[10:11], s[8:9]
	s_xor_b64 s[10:11], exec, s[10:11]
	s_cbranch_execz .LBB58_14
; %bb.9:                                ;   in Loop: Header=BB58_7 Depth=2
	v_cmp_ne_u32_e64 s[8:9], v5, v10
                                        ; implicit-def: $vgpr4
	s_and_saveexec_b64 s[26:27], s[8:9]
	s_xor_b64 s[26:27], exec, s[26:27]
	s_cbranch_execz .LBB58_11
; %bb.10:                               ;   in Loop: Header=BB58_7 Depth=2
	v_ashrrev_i32_e32 v6, 31, v5
	v_mul_lo_u32 v7, s17, v5
	v_mad_u64_u32 v[3:4], s[8:9], s16, v5, 0
	v_mul_lo_u32 v5, s16, v6
	v_add3_u32 v4, v4, v5, v7
	v_lshlrev_b64 v[3:4], 3, v[3:4]
	v_add_co_u32_e64 v3, s[8:9], v15, v3
	v_addc_co_u32_e64 v4, s[8:9], v16, v4, s[8:9]
	flat_load_dwordx2 v[3:4], v[3:4]
.LBB58_11:                              ;   in Loop: Header=BB58_7 Depth=2
	s_andn2_saveexec_b64 s[8:9], s[26:27]
	s_cbranch_execz .LBB58_13
; %bb.12:                               ;   in Loop: Header=BB58_7 Depth=2
	s_waitcnt vmcnt(0) lgkmcnt(0)
	flat_load_dword v3, v[11:12]
	v_mov_b32_e32 v4, 0
.LBB58_13:                              ;   in Loop: Header=BB58_7 Depth=2
	s_or_b64 exec, exec, s[8:9]
                                        ; implicit-def: $vgpr5
.LBB58_14:                              ;   in Loop: Header=BB58_7 Depth=2
	s_andn2_saveexec_b64 s[10:11], s[10:11]
	s_cbranch_execz .LBB58_16
; %bb.15:                               ;   in Loop: Header=BB58_7 Depth=2
	v_ashrrev_i32_e32 v6, 31, v5
	s_waitcnt vmcnt(0) lgkmcnt(0)
	v_lshlrev_b64 v[3:4], 3, v[5:6]
	v_add_co_u32_e64 v3, s[8:9], v17, v3
	v_addc_co_u32_e64 v4, s[8:9], v18, v4, s[8:9]
	flat_load_dwordx2 v[3:4], v[3:4]
	s_waitcnt vmcnt(0) lgkmcnt(0)
	v_xor_b32_e32 v4, 0x80000000, v4
.LBB58_16:                              ;   in Loop: Header=BB58_7 Depth=2
	s_or_b64 exec, exec, s[10:11]
.LBB58_17:                              ;   in Loop: Header=BB58_7 Depth=2
	s_or_b64 exec, exec, s[24:25]
	s_waitcnt vmcnt(0) lgkmcnt(0)
	ds_write_b64 v20, v[3:4]
	v_add_u32_e32 v4, s12, v0
	v_cmp_gt_i32_e64 s[8:9], s13, v4
	s_and_b64 s[8:9], s[8:9], vcc
	v_mov_b32_e32 v3, 0
	s_and_saveexec_b64 s[10:11], s[8:9]
	s_cbranch_execz .LBB58_19
; %bb.18:                               ;   in Loop: Header=BB58_7 Depth=2
	v_ashrrev_i32_e32 v5, 31, v4
	v_lshlrev_b64 v[2:3], 3, v[4:5]
	v_add_co_u32_e64 v2, s[8:9], v24, v2
	v_addc_co_u32_e64 v3, s[8:9], v25, v3, s[8:9]
	flat_load_dwordx2 v[2:3], v[2:3]
.LBB58_19:                              ;   in Loop: Header=BB58_7 Depth=2
	s_or_b64 exec, exec, s[10:11]
	v_add_u32_e32 v4, v21, v19
	s_waitcnt vmcnt(0) lgkmcnt(0)
	ds_write_b64 v4, v[2:3]
	s_waitcnt lgkmcnt(0)
	s_barrier
	s_and_saveexec_b64 s[8:9], s[22:23]
	s_cbranch_execz .LBB58_6
; %bb.20:                               ;   in Loop: Header=BB58_7 Depth=2
	ds_read2_b64 v[2:5], v21 offset1:32
	ds_read_b128 v[6:9], v19
	ds_read_b128 v[26:29], v19 offset:16
	ds_read_b128 v[30:33], v19 offset:32
	ds_read_b128 v[34:37], v19 offset:48
	s_waitcnt lgkmcnt(3)
	v_mul_f32_e32 v38, v3, v7
	v_fma_f32 v38, v2, v6, -v38
	v_mul_f32_e32 v7, v2, v7
	v_mul_f32_e32 v2, v5, v9
	;; [unrolled: 1-line block ×3, first 2 shown]
	v_fmac_f32_e32 v7, v3, v6
	v_fma_f32 v6, v4, v8, -v2
	v_fmac_f32_e32 v9, v5, v8
	ds_read2_b64 v[2:5], v21 offset0:64 offset1:96
	v_add_f32_e32 v8, 0, v38
	v_add_f32_e32 v6, v8, v6
	;; [unrolled: 1-line block ×4, first 2 shown]
	s_waitcnt lgkmcnt(0)
	v_mul_f32_e32 v8, v3, v27
	v_fma_f32 v8, v2, v26, -v8
	v_mul_f32_e32 v2, v2, v27
	v_fmac_f32_e32 v2, v3, v26
	v_add_f32_e32 v3, v6, v8
	v_mul_f32_e32 v6, v5, v29
	v_add_f32_e32 v2, v7, v2
	v_fma_f32 v26, v4, v28, -v6
	ds_read2_b64 v[6:9], v21 offset0:128 offset1:160
	v_mul_f32_e32 v4, v4, v29
	v_fmac_f32_e32 v4, v5, v28
	v_add_f32_e32 v2, v2, v4
	v_add_f32_e32 v3, v3, v26
	s_waitcnt lgkmcnt(0)
	v_mul_f32_e32 v5, v6, v31
	v_mul_f32_e32 v4, v7, v31
	v_fmac_f32_e32 v5, v7, v30
	v_fma_f32 v4, v6, v30, -v4
	v_add_f32_e32 v7, v2, v5
	v_mul_f32_e32 v2, v9, v33
	v_add_f32_e32 v6, v3, v4
	v_fma_f32 v26, v8, v32, -v2
	ds_read2_b64 v[2:5], v21 offset0:192 offset1:224
	v_mul_f32_e32 v8, v8, v33
	v_fmac_f32_e32 v8, v9, v32
	v_add_f32_e32 v7, v7, v8
	v_add_f32_e32 v6, v6, v26
	s_waitcnt lgkmcnt(0)
	v_mul_f32_e32 v8, v3, v35
	v_fma_f32 v8, v2, v34, -v8
	v_mul_f32_e32 v2, v2, v35
	v_fmac_f32_e32 v2, v3, v34
	v_add_f32_e32 v3, v6, v8
	v_mul_f32_e32 v6, v5, v37
	v_add_u32_e32 v34, 0x800, v21
	v_add_f32_e32 v2, v7, v2
	v_fma_f32 v30, v4, v36, -v6
	ds_read_b128 v[6:9], v19 offset:64
	ds_read2_b64 v[26:29], v34 offset1:32
	v_mul_f32_e32 v4, v4, v37
	v_fmac_f32_e32 v4, v5, v36
	v_add_f32_e32 v30, v3, v30
	v_add_f32_e32 v31, v2, v4
	ds_read_b128 v[2:5], v19 offset:80
	s_waitcnt lgkmcnt(1)
	v_mul_f32_e32 v32, v27, v7
	v_mul_f32_e32 v7, v26, v7
	v_fma_f32 v32, v26, v6, -v32
	v_fmac_f32_e32 v7, v27, v6
	v_add_f32_e32 v6, v30, v32
	v_add_f32_e32 v7, v31, v7
	ds_read2_b64 v[30:33], v34 offset0:64 offset1:96
	v_mul_f32_e32 v26, v29, v9
	v_mul_f32_e32 v9, v28, v9
	v_fma_f32 v26, v28, v8, -v26
	v_fmac_f32_e32 v9, v29, v8
	s_waitcnt lgkmcnt(0)
	v_mul_f32_e32 v8, v31, v3
	v_add_f32_e32 v6, v6, v26
	v_fma_f32 v8, v30, v2, -v8
	v_mul_f32_e32 v3, v30, v3
	v_add_f32_e32 v7, v7, v9
	v_fmac_f32_e32 v3, v31, v2
	v_add_f32_e32 v2, v6, v8
	v_mul_f32_e32 v6, v33, v5
	v_add_f32_e32 v3, v7, v3
	v_fma_f32 v9, v32, v4, -v6
	v_mul_f32_e32 v30, v32, v5
	ds_read_b128 v[5:8], v19 offset:96
	ds_read2_b64 v[26:29], v34 offset0:128 offset1:160
	v_fmac_f32_e32 v30, v33, v4
	v_add_f32_e32 v2, v2, v9
	v_add_f32_e32 v3, v3, v30
	ds_read_b128 v[30:33], v19 offset:112
	s_waitcnt lgkmcnt(1)
	v_mul_f32_e32 v4, v27, v6
	v_fma_f32 v4, v26, v5, -v4
	v_mul_f32_e32 v6, v26, v6
	v_fmac_f32_e32 v6, v27, v5
	v_add_f32_e32 v9, v2, v4
	v_mul_f32_e32 v2, v29, v8
	v_add_f32_e32 v6, v3, v6
	v_fma_f32 v26, v28, v7, -v2
	ds_read2_b64 v[2:5], v34 offset0:192 offset1:224
	v_mul_f32_e32 v8, v28, v8
	v_fmac_f32_e32 v8, v29, v7
	v_add_f32_e32 v6, v6, v8
	v_add_f32_e32 v7, v9, v26
	s_waitcnt lgkmcnt(0)
	v_mul_f32_e32 v8, v3, v31
	v_fma_f32 v8, v2, v30, -v8
	v_mul_f32_e32 v2, v2, v31
	v_fmac_f32_e32 v2, v3, v30
	v_add_f32_e32 v2, v6, v2
	v_mul_f32_e32 v6, v5, v33
	v_add_u32_e32 v26, 0x1000, v21
	v_add_f32_e32 v3, v7, v8
	v_fma_f32 v31, v4, v32, -v6
	ds_read_b128 v[6:9], v19 offset:128
	ds_read2_b64 v[27:30], v26 offset1:32
	v_mul_f32_e32 v4, v4, v33
	v_fmac_f32_e32 v4, v5, v32
	v_add_f32_e32 v3, v3, v31
	ds_read_b128 v[31:34], v19 offset:144
	ds_read2_b64 v[35:38], v26 offset0:64 offset1:96
	s_waitcnt lgkmcnt(2)
	v_mul_f32_e32 v5, v27, v7
	v_add_f32_e32 v2, v2, v4
	v_mul_f32_e32 v4, v28, v7
	v_fmac_f32_e32 v5, v28, v6
	v_fma_f32 v4, v27, v6, -v4
	v_add_f32_e32 v2, v2, v5
	v_mul_f32_e32 v5, v29, v9
	v_add_f32_e32 v3, v3, v4
	v_mul_f32_e32 v4, v30, v9
	v_fmac_f32_e32 v5, v30, v8
	v_fma_f32 v4, v29, v8, -v4
	v_add_f32_e32 v2, v2, v5
	s_waitcnt lgkmcnt(0)
	v_mul_f32_e32 v5, v35, v32
	v_add_f32_e32 v3, v3, v4
	v_mul_f32_e32 v4, v36, v32
	v_fmac_f32_e32 v5, v36, v31
	v_fma_f32 v4, v35, v31, -v4
	v_add_f32_e32 v28, v2, v5
	v_mul_f32_e32 v2, v38, v34
	v_add_f32_e32 v27, v3, v4
	v_fma_f32 v29, v37, v33, -v2
	ds_read_b128 v[2:5], v19 offset:160
	ds_read2_b64 v[6:9], v26 offset0:128 offset1:160
	flat_load_dwordx2 v[35:36], v[13:14]
	v_mul_f32_e32 v30, v37, v34
	v_fmac_f32_e32 v30, v38, v33
	v_add_f32_e32 v31, v27, v29
	s_waitcnt lgkmcnt(0)
	v_mul_f32_e32 v33, v7, v3
	v_mul_f32_e32 v3, v6, v3
	v_add_f32_e32 v32, v28, v30
	v_fma_f32 v33, v6, v2, -v33
	v_fmac_f32_e32 v3, v7, v2
	ds_read_b128 v[27:30], v19 offset:176
	v_add_f32_e32 v2, v31, v33
	v_add_f32_e32 v3, v32, v3
	ds_read2_b64 v[31:34], v26 offset0:192 offset1:224
	v_mul_f32_e32 v6, v9, v5
	v_mul_f32_e32 v5, v8, v5
	v_fma_f32 v6, v8, v4, -v6
	v_fmac_f32_e32 v5, v9, v4
	s_waitcnt lgkmcnt(0)
	v_mul_f32_e32 v4, v32, v28
	v_add_f32_e32 v2, v2, v6
	v_add_f32_e32 v3, v3, v5
	v_fma_f32 v4, v31, v27, -v4
	v_mul_f32_e32 v5, v31, v28
	v_fmac_f32_e32 v5, v32, v27
	v_add_f32_e32 v26, v2, v4
	v_mul_f32_e32 v2, v34, v30
	v_add_u32_e32 v37, 0x1800, v21
	v_add_f32_e32 v27, v3, v5
	v_fma_f32 v28, v33, v29, -v2
	ds_read_b128 v[2:5], v19 offset:192
	ds_read2_b64 v[6:9], v37 offset1:32
	v_mul_f32_e32 v30, v33, v30
	v_fmac_f32_e32 v30, v34, v29
	v_add_f32_e32 v31, v26, v28
	v_add_f32_e32 v30, v27, v30
	ds_read_b128 v[26:29], v19 offset:208
	s_waitcnt lgkmcnt(0)
	v_mul_f32_e32 v32, v7, v3
	v_mul_f32_e32 v3, v6, v3
	v_fma_f32 v32, v6, v2, -v32
	v_fmac_f32_e32 v3, v7, v2
	v_add_f32_e32 v2, v31, v32
	v_add_f32_e32 v3, v30, v3
	ds_read2_b64 v[30:33], v37 offset0:64 offset1:96
	v_mul_f32_e32 v6, v9, v5
	v_mul_f32_e32 v5, v8, v5
	v_fma_f32 v6, v8, v4, -v6
	v_fmac_f32_e32 v5, v9, v4
	s_waitcnt lgkmcnt(0)
	v_mul_f32_e32 v4, v31, v27
	v_add_f32_e32 v2, v2, v6
	v_add_f32_e32 v3, v3, v5
	v_fma_f32 v4, v30, v26, -v4
	v_mul_f32_e32 v5, v30, v27
	v_fmac_f32_e32 v5, v31, v26
	v_add_f32_e32 v26, v2, v4
	v_mul_f32_e32 v2, v33, v29
	v_add_f32_e32 v27, v3, v5
	v_fma_f32 v30, v32, v28, -v2
	ds_read_b128 v[2:5], v19 offset:224
	ds_read2_b64 v[6:9], v37 offset0:128 offset1:160
	v_mul_f32_e32 v29, v32, v29
	v_fmac_f32_e32 v29, v33, v28
	v_add_f32_e32 v30, v26, v30
	v_add_f32_e32 v31, v27, v29
	s_waitcnt lgkmcnt(0)
	v_mul_f32_e32 v32, v7, v3
	v_mul_f32_e32 v3, v6, v3
	v_fma_f32 v32, v6, v2, -v32
	v_fmac_f32_e32 v3, v7, v2
	ds_read_b128 v[26:29], v19 offset:240
	v_add_f32_e32 v2, v30, v32
	v_add_f32_e32 v3, v31, v3
	ds_read2_b64 v[30:33], v37 offset0:192 offset1:224
	v_mul_f32_e32 v6, v9, v5
	v_mul_f32_e32 v5, v8, v5
	v_fmac_f32_e32 v5, v9, v4
	v_fma_f32 v6, v8, v4, -v6
	v_add_f32_e32 v3, v3, v5
	s_waitcnt lgkmcnt(0)
	v_mul_f32_e32 v4, v31, v27
	v_mul_f32_e32 v5, v30, v27
	v_add_f32_e32 v2, v2, v6
	v_fma_f32 v4, v30, v26, -v4
	v_fmac_f32_e32 v5, v31, v26
	v_add_f32_e32 v2, v2, v4
	v_add_f32_e32 v3, v3, v5
	v_mul_f32_e32 v4, v33, v29
	v_mul_f32_e32 v5, v32, v29
	v_fma_f32 v4, v32, v28, -v4
	v_fmac_f32_e32 v5, v33, v28
	v_add_f32_e32 v2, v2, v4
	v_add_f32_e32 v3, v3, v5
	v_mul_f32_e32 v4, s28, v3
	v_mul_f32_e32 v5, s28, v2
	v_fma_f32 v4, s15, v2, -v4
	v_fmac_f32_e32 v5, s15, v3
	s_waitcnt vmcnt(0)
	v_add_f32_e32 v2, v35, v4
	v_add_f32_e32 v3, v36, v5
	flat_store_dwordx2 v[13:14], v[2:3]
	s_branch .LBB58_6
.LBB58_21:
	s_endpgm
	.section	.rodata,"a",@progbits
	.p2align	6, 0x0
	.amdhsa_kernel _ZL24rocblas_symm_hemm_kernelILb1ELb0ELi32E19rocblas_complex_numIfEPKPKS1_PKPS1_EvbiiT2_T3_lllSA_lllT4_llli
		.amdhsa_group_segment_fixed_size 16384
		.amdhsa_private_segment_fixed_size 0
		.amdhsa_kernarg_size 384
		.amdhsa_user_sgpr_count 6
		.amdhsa_user_sgpr_private_segment_buffer 1
		.amdhsa_user_sgpr_dispatch_ptr 0
		.amdhsa_user_sgpr_queue_ptr 0
		.amdhsa_user_sgpr_kernarg_segment_ptr 1
		.amdhsa_user_sgpr_dispatch_id 0
		.amdhsa_user_sgpr_flat_scratch_init 0
		.amdhsa_user_sgpr_private_segment_size 0
		.amdhsa_uses_dynamic_stack 0
		.amdhsa_system_sgpr_private_segment_wavefront_offset 0
		.amdhsa_system_sgpr_workgroup_id_x 1
		.amdhsa_system_sgpr_workgroup_id_y 1
		.amdhsa_system_sgpr_workgroup_id_z 1
		.amdhsa_system_sgpr_workgroup_info 0
		.amdhsa_system_vgpr_workitem_id 1
		.amdhsa_next_free_vgpr 39
		.amdhsa_next_free_sgpr 61
		.amdhsa_reserve_vcc 1
		.amdhsa_reserve_flat_scratch 0
		.amdhsa_float_round_mode_32 0
		.amdhsa_float_round_mode_16_64 0
		.amdhsa_float_denorm_mode_32 3
		.amdhsa_float_denorm_mode_16_64 3
		.amdhsa_dx10_clamp 1
		.amdhsa_ieee_mode 1
		.amdhsa_fp16_overflow 0
		.amdhsa_exception_fp_ieee_invalid_op 0
		.amdhsa_exception_fp_denorm_src 0
		.amdhsa_exception_fp_ieee_div_zero 0
		.amdhsa_exception_fp_ieee_overflow 0
		.amdhsa_exception_fp_ieee_underflow 0
		.amdhsa_exception_fp_ieee_inexact 0
		.amdhsa_exception_int_div_zero 0
	.end_amdhsa_kernel
	.section	.text._ZL24rocblas_symm_hemm_kernelILb1ELb0ELi32E19rocblas_complex_numIfEPKPKS1_PKPS1_EvbiiT2_T3_lllSA_lllT4_llli,"axG",@progbits,_ZL24rocblas_symm_hemm_kernelILb1ELb0ELi32E19rocblas_complex_numIfEPKPKS1_PKPS1_EvbiiT2_T3_lllSA_lllT4_llli,comdat
.Lfunc_end58:
	.size	_ZL24rocblas_symm_hemm_kernelILb1ELb0ELi32E19rocblas_complex_numIfEPKPKS1_PKPS1_EvbiiT2_T3_lllSA_lllT4_llli, .Lfunc_end58-_ZL24rocblas_symm_hemm_kernelILb1ELb0ELi32E19rocblas_complex_numIfEPKPKS1_PKPS1_EvbiiT2_T3_lllSA_lllT4_llli
                                        ; -- End function
	.set _ZL24rocblas_symm_hemm_kernelILb1ELb0ELi32E19rocblas_complex_numIfEPKPKS1_PKPS1_EvbiiT2_T3_lllSA_lllT4_llli.num_vgpr, 39
	.set _ZL24rocblas_symm_hemm_kernelILb1ELb0ELi32E19rocblas_complex_numIfEPKPKS1_PKPS1_EvbiiT2_T3_lllSA_lllT4_llli.num_agpr, 0
	.set _ZL24rocblas_symm_hemm_kernelILb1ELb0ELi32E19rocblas_complex_numIfEPKPKS1_PKPS1_EvbiiT2_T3_lllSA_lllT4_llli.numbered_sgpr, 32
	.set _ZL24rocblas_symm_hemm_kernelILb1ELb0ELi32E19rocblas_complex_numIfEPKPKS1_PKPS1_EvbiiT2_T3_lllSA_lllT4_llli.num_named_barrier, 0
	.set _ZL24rocblas_symm_hemm_kernelILb1ELb0ELi32E19rocblas_complex_numIfEPKPKS1_PKPS1_EvbiiT2_T3_lllSA_lllT4_llli.private_seg_size, 0
	.set _ZL24rocblas_symm_hemm_kernelILb1ELb0ELi32E19rocblas_complex_numIfEPKPKS1_PKPS1_EvbiiT2_T3_lllSA_lllT4_llli.uses_vcc, 1
	.set _ZL24rocblas_symm_hemm_kernelILb1ELb0ELi32E19rocblas_complex_numIfEPKPKS1_PKPS1_EvbiiT2_T3_lllSA_lllT4_llli.uses_flat_scratch, 0
	.set _ZL24rocblas_symm_hemm_kernelILb1ELb0ELi32E19rocblas_complex_numIfEPKPKS1_PKPS1_EvbiiT2_T3_lllSA_lllT4_llli.has_dyn_sized_stack, 0
	.set _ZL24rocblas_symm_hemm_kernelILb1ELb0ELi32E19rocblas_complex_numIfEPKPKS1_PKPS1_EvbiiT2_T3_lllSA_lllT4_llli.has_recursion, 0
	.set _ZL24rocblas_symm_hemm_kernelILb1ELb0ELi32E19rocblas_complex_numIfEPKPKS1_PKPS1_EvbiiT2_T3_lllSA_lllT4_llli.has_indirect_call, 0
	.section	.AMDGPU.csdata,"",@progbits
; Kernel info:
; codeLenInByte = 2280
; TotalNumSgprs: 36
; NumVgprs: 39
; ScratchSize: 0
; MemoryBound: 0
; FloatMode: 240
; IeeeMode: 1
; LDSByteSize: 16384 bytes/workgroup (compile time only)
; SGPRBlocks: 8
; VGPRBlocks: 9
; NumSGPRsForWavesPerEU: 65
; NumVGPRsForWavesPerEU: 39
; Occupancy: 6
; WaveLimiterHint : 1
; COMPUTE_PGM_RSRC2:SCRATCH_EN: 0
; COMPUTE_PGM_RSRC2:USER_SGPR: 6
; COMPUTE_PGM_RSRC2:TRAP_HANDLER: 0
; COMPUTE_PGM_RSRC2:TGID_X_EN: 1
; COMPUTE_PGM_RSRC2:TGID_Y_EN: 1
; COMPUTE_PGM_RSRC2:TGID_Z_EN: 1
; COMPUTE_PGM_RSRC2:TIDIG_COMP_CNT: 1
	.section	.text._ZL24rocblas_symm_hemm_kernelILb1ELb1ELi32E19rocblas_complex_numIfEPKPKS1_PKPS1_EvbiiT2_T3_lllSA_lllT4_llli,"axG",@progbits,_ZL24rocblas_symm_hemm_kernelILb1ELb1ELi32E19rocblas_complex_numIfEPKPKS1_PKPS1_EvbiiT2_T3_lllSA_lllT4_llli,comdat
	.globl	_ZL24rocblas_symm_hemm_kernelILb1ELb1ELi32E19rocblas_complex_numIfEPKPKS1_PKPS1_EvbiiT2_T3_lllSA_lllT4_llli ; -- Begin function _ZL24rocblas_symm_hemm_kernelILb1ELb1ELi32E19rocblas_complex_numIfEPKPKS1_PKPS1_EvbiiT2_T3_lllSA_lllT4_llli
	.p2align	8
	.type	_ZL24rocblas_symm_hemm_kernelILb1ELb1ELi32E19rocblas_complex_numIfEPKPKS1_PKPS1_EvbiiT2_T3_lllSA_lllT4_llli,@function
_ZL24rocblas_symm_hemm_kernelILb1ELb1ELi32E19rocblas_complex_numIfEPKPKS1_PKPS1_EvbiiT2_T3_lllSA_lllT4_llli: ; @_ZL24rocblas_symm_hemm_kernelILb1ELb1ELi32E19rocblas_complex_numIfEPKPKS1_PKPS1_EvbiiT2_T3_lllSA_lllT4_llli
; %bb.0:
	s_load_dwordx4 s[12:15], s[4:5], 0x0
	s_load_dword s24, s[4:5], 0x10
	s_waitcnt lgkmcnt(0)
	v_cmp_eq_f32_e64 s[0:1], s15, 0
	v_cmp_eq_f32_e64 s[2:3], s24, 0
	s_and_b64 s[0:1], s[0:1], s[2:3]
	s_and_b64 vcc, exec, s[0:1]
	s_cbranch_vccnz .LBB59_21
; %bb.1:
	s_add_i32 s0, s14, -1
	s_ashr_i32 s1, s0, 31
	s_lshr_b32 s1, s1, 27
	s_add_i32 s0, s0, s1
	s_ashr_i32 s25, s0, 5
	s_cmp_gt_i32 s7, s25
	s_cbranch_scc1 .LBB59_21
; %bb.2:
	s_load_dwordx4 s[0:3], s[4:5], 0x18
	s_load_dwordx2 s[10:11], s[4:5], 0x28
	s_mov_b32 s9, 0
	s_lshl_b64 s[8:9], s[8:9], 3
	v_lshl_add_u32 v2, s6, 5, v0
	s_waitcnt lgkmcnt(0)
	s_add_u32 s0, s0, s8
	s_addc_u32 s1, s1, s9
	s_load_dwordx2 s[26:27], s[0:1], 0x0
	s_load_dwordx4 s[20:23], s[4:5], 0x38
	s_load_dwordx2 s[16:17], s[4:5], 0x48
	s_load_dwordx2 s[18:19], s[4:5], 0x68
	s_load_dwordx4 s[28:31], s[4:5], 0x58
	s_lshl_b64 s[0:1], s[2:3], 3
	s_waitcnt lgkmcnt(0)
	s_add_u32 s26, s26, s0
	s_addc_u32 s27, s27, s1
	s_add_u32 s0, s20, s8
	s_addc_u32 s1, s21, s9
	;; [unrolled: 2-line block ×3, first 2 shown]
	s_load_dwordx2 s[8:9], s[2:3], 0x0
	s_load_dwordx2 s[20:21], s[0:1], 0x0
	s_bitcmp1_b32 s12, 0
	s_cselect_b64 s[0:1], -1, 0
	s_lshl_b64 s[2:3], s[30:31], 3
	s_waitcnt lgkmcnt(0)
	s_add_u32 s12, s8, s2
	s_addc_u32 s28, s9, s3
	s_lshl_b64 s[2:3], s[22:23], 3
	s_add_u32 s20, s20, s2
	v_ashrrev_i32_e32 v3, 31, v2
	s_addc_u32 s21, s21, s3
	v_cmp_gt_i32_e64 s[2:3], s13, v2
	v_lshlrev_b64 v[2:3], 3, v[2:3]
	s_load_dword s6, s[4:5], 0x84
	v_mov_b32_e32 v4, s21
	v_add_co_u32_e32 v15, vcc, s20, v2
	s_cmp_gt_i32 s14, 0
	v_addc_co_u32_e32 v16, vcc, v4, v3, vcc
	s_cselect_b64 s[8:9], -1, 0
	v_lshlrev_b32_e32 v17, 8, v0
	v_lshlrev_b32_e32 v4, 3, v1
	v_add_co_u32_e32 v21, vcc, s12, v2
	v_lshl_add_u32 v2, s7, 5, v1
	v_add_u32_e32 v18, v17, v4
	v_or_b32_e32 v19, 0x2000, v4
	v_mov_b32_e32 v4, s28
	v_sub_u32_e32 v23, 0, v2
	v_cndmask_b32_e64 v2, 0, 1, s[8:9]
	v_add_u32_e32 v20, v19, v17
	v_addc_co_u32_e32 v22, vcc, v4, v3, vcc
	s_waitcnt lgkmcnt(0)
	s_lshl_b32 s28, s6, 5
	v_cmp_ne_u32_e64 s[4:5], 1, v2
	s_branch .LBB59_4
.LBB59_3:                               ;   in Loop: Header=BB59_4 Depth=1
	s_add_i32 s7, s7, s6
	s_cmp_gt_i32 s7, s25
	v_subrev_u32_e32 v23, s28, v23
	s_cbranch_scc1 .LBB59_21
.LBB59_4:                               ; =>This Loop Header: Depth=1
                                        ;     Child Loop BB59_7 Depth 2
	s_and_b64 vcc, exec, s[4:5]
	s_cbranch_vccnz .LBB59_3
; %bb.5:                                ;   in Loop: Header=BB59_4 Depth=1
	v_lshl_add_u32 v10, s7, 5, v1
	v_ashrrev_i32_e32 v11, 31, v10
	v_mul_lo_u32 v4, s11, v10
	v_mad_u64_u32 v[2:3], s[8:9], s10, v10, 0
	v_mul_lo_u32 v5, s10, v11
	v_mul_lo_u32 v7, s18, v11
	;; [unrolled: 1-line block ×3, first 2 shown]
	v_mov_b32_e32 v6, s27
	v_add3_u32 v3, v3, v5, v4
	v_lshlrev_b64 v[2:3], 3, v[2:3]
	v_mov_b32_e32 v4, s27
	v_add_co_u32_e32 v24, vcc, s26, v2
	v_addc_co_u32_e32 v25, vcc, v4, v3, vcc
	v_mad_u64_u32 v[4:5], s[8:9], s18, v10, 0
	v_lshlrev_b64 v[2:3], 3, v[10:11]
	v_add_u32_e32 v28, v0, v23
	v_add_co_u32_e32 v26, vcc, s26, v2
	v_add3_u32 v5, v5, v7, v8
	v_addc_co_u32_e32 v27, vcc, v6, v3, vcc
	v_lshlrev_b64 v[4:5], 3, v[4:5]
	v_cmp_gt_i32_e32 vcc, s14, v10
	s_and_b64 s[12:13], s[2:3], vcc
	v_add_co_u32_e32 v11, vcc, v21, v4
	v_addc_co_u32_e32 v12, vcc, v22, v5, vcc
	v_add_co_u32_e32 v13, vcc, v24, v2
	v_addc_co_u32_e32 v14, vcc, v25, v3, vcc
	s_mov_b32 s29, 0
	s_branch .LBB59_7
.LBB59_6:                               ;   in Loop: Header=BB59_7 Depth=2
	s_or_b64 exec, exec, s[8:9]
	s_add_i32 s29, s29, 32
	s_cmp_ge_i32 s29, s14
	s_waitcnt vmcnt(0) lgkmcnt(0)
	s_barrier
	s_cbranch_scc1 .LBB59_3
.LBB59_7:                               ;   Parent Loop BB59_4 Depth=1
                                        ; =>  This Inner Loop Header: Depth=2
	v_add_u32_e32 v5, s29, v1
	v_cmp_gt_i32_e32 vcc, s14, v5
	s_and_b64 s[20:21], s[2:3], vcc
	v_mov_b32_e32 v2, 0
	v_mov_b32_e32 v3, 0
	;; [unrolled: 1-line block ×3, first 2 shown]
	s_and_saveexec_b64 s[8:9], s[20:21]
	s_cbranch_execz .LBB59_9
; %bb.8:                                ;   in Loop: Header=BB59_7 Depth=2
	v_ashrrev_i32_e32 v6, 31, v5
	v_mul_lo_u32 v7, s17, v5
	v_mad_u64_u32 v[3:4], s[20:21], s16, v5, 0
	v_mul_lo_u32 v5, s16, v6
	v_add3_u32 v4, v4, v5, v7
	v_lshlrev_b64 v[3:4], 3, v[3:4]
	v_add_co_u32_e32 v3, vcc, v15, v3
	v_addc_co_u32_e32 v4, vcc, v16, v4, vcc
	flat_load_dwordx2 v[3:4], v[3:4]
.LBB59_9:                               ;   in Loop: Header=BB59_7 Depth=2
	s_or_b64 exec, exec, s[8:9]
	s_waitcnt vmcnt(0) lgkmcnt(0)
	ds_write_b64 v18, v[3:4]
	v_add_u32_e32 v4, s29, v0
	v_cndmask_b32_e64 v3, v10, v4, s[0:1]
	v_cndmask_b32_e64 v5, v4, v10, s[0:1]
	v_cmp_gt_i32_e64 s[8:9], v3, v5
	v_cmp_le_i32_e32 vcc, v3, v5
	v_cndmask_b32_e64 v3, v4, v10, s[8:9]
	v_cndmask_b32_e64 v5, v10, v4, s[8:9]
	v_max_i32_e32 v3, v3, v5
	v_cmp_gt_i32_e64 s[8:9], s14, v3
	v_mov_b32_e32 v3, 0
	s_and_saveexec_b64 s[20:21], s[8:9]
	s_cbranch_execz .LBB59_19
; %bb.10:                               ;   in Loop: Header=BB59_7 Depth=2
                                        ; implicit-def: $vgpr3
	s_and_saveexec_b64 s[8:9], vcc
	s_xor_b64 s[8:9], exec, s[8:9]
	s_cbranch_execz .LBB59_16
; %bb.11:                               ;   in Loop: Header=BB59_7 Depth=2
	v_add_u32_e32 v2, s29, v28
	v_cmp_ne_u32_e32 vcc, 0, v2
                                        ; implicit-def: $vgpr3
	s_and_saveexec_b64 s[22:23], vcc
	s_xor_b64 s[22:23], exec, s[22:23]
	s_cbranch_execz .LBB59_13
; %bb.12:                               ;   in Loop: Header=BB59_7 Depth=2
	v_ashrrev_i32_e32 v5, 31, v4
	v_lshlrev_b64 v[2:3], 3, v[4:5]
	v_add_co_u32_e32 v2, vcc, v24, v2
	v_addc_co_u32_e32 v3, vcc, v25, v3, vcc
	flat_load_dwordx2 v[2:3], v[2:3]
.LBB59_13:                              ;   in Loop: Header=BB59_7 Depth=2
	s_andn2_saveexec_b64 s[22:23], s[22:23]
	s_cbranch_execz .LBB59_15
; %bb.14:                               ;   in Loop: Header=BB59_7 Depth=2
	s_waitcnt vmcnt(0) lgkmcnt(0)
	flat_load_dword v2, v[13:14]
	v_mov_b32_e32 v3, 0
.LBB59_15:                              ;   in Loop: Header=BB59_7 Depth=2
	s_or_b64 exec, exec, s[22:23]
                                        ; implicit-def: $vgpr4
.LBB59_16:                              ;   in Loop: Header=BB59_7 Depth=2
	s_andn2_saveexec_b64 s[8:9], s[8:9]
	s_cbranch_execz .LBB59_18
; %bb.17:                               ;   in Loop: Header=BB59_7 Depth=2
	v_ashrrev_i32_e32 v5, 31, v4
	v_mul_lo_u32 v6, s11, v4
	s_waitcnt vmcnt(0) lgkmcnt(0)
	v_mad_u64_u32 v[2:3], s[22:23], s10, v4, 0
	v_mul_lo_u32 v4, s10, v5
	v_add3_u32 v3, v3, v4, v6
	v_lshlrev_b64 v[2:3], 3, v[2:3]
	v_add_co_u32_e32 v2, vcc, v26, v2
	v_addc_co_u32_e32 v3, vcc, v27, v3, vcc
	flat_load_dwordx2 v[2:3], v[2:3]
	s_waitcnt vmcnt(0) lgkmcnt(0)
	v_xor_b32_e32 v3, 0x80000000, v3
.LBB59_18:                              ;   in Loop: Header=BB59_7 Depth=2
	s_or_b64 exec, exec, s[8:9]
.LBB59_19:                              ;   in Loop: Header=BB59_7 Depth=2
	s_or_b64 exec, exec, s[20:21]
	s_waitcnt vmcnt(0) lgkmcnt(0)
	ds_write_b64 v20, v[2:3]
	s_waitcnt lgkmcnt(0)
	s_barrier
	s_and_saveexec_b64 s[8:9], s[12:13]
	s_cbranch_execz .LBB59_6
; %bb.20:                               ;   in Loop: Header=BB59_7 Depth=2
	ds_read2_b64 v[2:5], v19 offset1:32
	ds_read_b128 v[6:9], v17
	ds_read_b128 v[29:32], v17 offset:16
	ds_read_b128 v[33:36], v17 offset:32
	;; [unrolled: 1-line block ×3, first 2 shown]
	s_waitcnt lgkmcnt(3)
	v_mul_f32_e32 v41, v3, v7
	v_fma_f32 v41, v2, v6, -v41
	v_mul_f32_e32 v7, v2, v7
	v_mul_f32_e32 v2, v5, v9
	;; [unrolled: 1-line block ×3, first 2 shown]
	v_fmac_f32_e32 v7, v3, v6
	v_fma_f32 v6, v4, v8, -v2
	v_fmac_f32_e32 v9, v5, v8
	ds_read2_b64 v[2:5], v19 offset0:64 offset1:96
	v_add_f32_e32 v8, 0, v41
	v_add_f32_e32 v6, v8, v6
	;; [unrolled: 1-line block ×4, first 2 shown]
	s_waitcnt lgkmcnt(0)
	v_mul_f32_e32 v8, v3, v30
	v_fma_f32 v8, v2, v29, -v8
	v_mul_f32_e32 v2, v2, v30
	v_fmac_f32_e32 v2, v3, v29
	v_add_f32_e32 v3, v6, v8
	v_mul_f32_e32 v6, v5, v32
	v_add_f32_e32 v2, v7, v2
	v_fma_f32 v29, v4, v31, -v6
	ds_read2_b64 v[6:9], v19 offset0:128 offset1:160
	v_mul_f32_e32 v4, v4, v32
	v_fmac_f32_e32 v4, v5, v31
	v_add_f32_e32 v2, v2, v4
	v_add_f32_e32 v3, v3, v29
	s_waitcnt lgkmcnt(0)
	v_mul_f32_e32 v5, v6, v34
	v_mul_f32_e32 v4, v7, v34
	v_fmac_f32_e32 v5, v7, v33
	v_fma_f32 v4, v6, v33, -v4
	v_add_f32_e32 v7, v2, v5
	v_mul_f32_e32 v2, v9, v36
	v_add_f32_e32 v6, v3, v4
	v_fma_f32 v29, v8, v35, -v2
	ds_read2_b64 v[2:5], v19 offset0:192 offset1:224
	v_mul_f32_e32 v8, v8, v36
	v_fmac_f32_e32 v8, v9, v35
	v_add_f32_e32 v7, v7, v8
	v_add_f32_e32 v6, v6, v29
	s_waitcnt lgkmcnt(0)
	v_mul_f32_e32 v8, v3, v38
	v_fma_f32 v8, v2, v37, -v8
	v_mul_f32_e32 v2, v2, v38
	v_fmac_f32_e32 v2, v3, v37
	v_add_f32_e32 v3, v6, v8
	v_mul_f32_e32 v6, v5, v40
	v_add_u32_e32 v37, 0x800, v19
	v_add_f32_e32 v2, v7, v2
	v_fma_f32 v33, v4, v39, -v6
	ds_read_b128 v[6:9], v17 offset:64
	ds_read2_b64 v[29:32], v37 offset1:32
	v_mul_f32_e32 v4, v4, v40
	v_fmac_f32_e32 v4, v5, v39
	v_add_f32_e32 v33, v3, v33
	v_add_f32_e32 v34, v2, v4
	ds_read_b128 v[2:5], v17 offset:80
	s_waitcnt lgkmcnt(1)
	v_mul_f32_e32 v35, v30, v7
	v_mul_f32_e32 v7, v29, v7
	v_fma_f32 v35, v29, v6, -v35
	v_fmac_f32_e32 v7, v30, v6
	v_add_f32_e32 v6, v33, v35
	v_add_f32_e32 v7, v34, v7
	ds_read2_b64 v[33:36], v37 offset0:64 offset1:96
	v_mul_f32_e32 v29, v32, v9
	v_mul_f32_e32 v9, v31, v9
	v_fma_f32 v29, v31, v8, -v29
	v_fmac_f32_e32 v9, v32, v8
	s_waitcnt lgkmcnt(0)
	v_mul_f32_e32 v8, v34, v3
	v_add_f32_e32 v6, v6, v29
	v_fma_f32 v8, v33, v2, -v8
	v_mul_f32_e32 v3, v33, v3
	v_add_f32_e32 v7, v7, v9
	v_fmac_f32_e32 v3, v34, v2
	v_add_f32_e32 v2, v6, v8
	v_mul_f32_e32 v6, v36, v5
	v_add_f32_e32 v3, v7, v3
	v_fma_f32 v9, v35, v4, -v6
	v_mul_f32_e32 v33, v35, v5
	ds_read_b128 v[5:8], v17 offset:96
	ds_read2_b64 v[29:32], v37 offset0:128 offset1:160
	v_fmac_f32_e32 v33, v36, v4
	v_add_f32_e32 v2, v2, v9
	v_add_f32_e32 v3, v3, v33
	ds_read_b128 v[33:36], v17 offset:112
	s_waitcnt lgkmcnt(1)
	v_mul_f32_e32 v4, v30, v6
	v_fma_f32 v4, v29, v5, -v4
	v_mul_f32_e32 v6, v29, v6
	v_fmac_f32_e32 v6, v30, v5
	v_add_f32_e32 v9, v2, v4
	v_mul_f32_e32 v2, v32, v8
	v_add_f32_e32 v6, v3, v6
	v_fma_f32 v29, v31, v7, -v2
	ds_read2_b64 v[2:5], v37 offset0:192 offset1:224
	v_mul_f32_e32 v8, v31, v8
	v_fmac_f32_e32 v8, v32, v7
	v_add_f32_e32 v6, v6, v8
	v_add_f32_e32 v7, v9, v29
	s_waitcnt lgkmcnt(0)
	v_mul_f32_e32 v8, v3, v34
	v_fma_f32 v8, v2, v33, -v8
	v_mul_f32_e32 v2, v2, v34
	v_fmac_f32_e32 v2, v3, v33
	v_add_f32_e32 v2, v6, v2
	v_mul_f32_e32 v6, v5, v36
	v_add_u32_e32 v29, 0x1000, v19
	v_add_f32_e32 v3, v7, v8
	v_fma_f32 v34, v4, v35, -v6
	ds_read_b128 v[6:9], v17 offset:128
	ds_read2_b64 v[30:33], v29 offset1:32
	v_mul_f32_e32 v4, v4, v36
	v_fmac_f32_e32 v4, v5, v35
	v_add_f32_e32 v3, v3, v34
	ds_read_b128 v[34:37], v17 offset:144
	ds_read2_b64 v[38:41], v29 offset0:64 offset1:96
	s_waitcnt lgkmcnt(2)
	v_mul_f32_e32 v5, v30, v7
	v_add_f32_e32 v2, v2, v4
	v_mul_f32_e32 v4, v31, v7
	v_fmac_f32_e32 v5, v31, v6
	v_fma_f32 v4, v30, v6, -v4
	v_add_f32_e32 v2, v2, v5
	v_mul_f32_e32 v5, v32, v9
	v_add_f32_e32 v3, v3, v4
	v_mul_f32_e32 v4, v33, v9
	v_fmac_f32_e32 v5, v33, v8
	v_fma_f32 v4, v32, v8, -v4
	v_add_f32_e32 v2, v2, v5
	s_waitcnt lgkmcnt(0)
	v_mul_f32_e32 v5, v38, v35
	v_add_f32_e32 v3, v3, v4
	v_mul_f32_e32 v4, v39, v35
	v_fmac_f32_e32 v5, v39, v34
	v_fma_f32 v4, v38, v34, -v4
	v_add_f32_e32 v31, v2, v5
	v_mul_f32_e32 v2, v41, v37
	v_add_f32_e32 v30, v3, v4
	v_fma_f32 v32, v40, v36, -v2
	ds_read_b128 v[2:5], v17 offset:160
	ds_read2_b64 v[6:9], v29 offset0:128 offset1:160
	flat_load_dwordx2 v[38:39], v[11:12]
	v_mul_f32_e32 v33, v40, v37
	v_fmac_f32_e32 v33, v41, v36
	v_add_f32_e32 v34, v30, v32
	s_waitcnt lgkmcnt(0)
	v_mul_f32_e32 v36, v7, v3
	v_mul_f32_e32 v3, v6, v3
	v_add_f32_e32 v35, v31, v33
	v_fma_f32 v36, v6, v2, -v36
	v_fmac_f32_e32 v3, v7, v2
	ds_read_b128 v[30:33], v17 offset:176
	v_add_f32_e32 v2, v34, v36
	v_add_f32_e32 v3, v35, v3
	ds_read2_b64 v[34:37], v29 offset0:192 offset1:224
	v_mul_f32_e32 v6, v9, v5
	v_mul_f32_e32 v5, v8, v5
	v_fma_f32 v6, v8, v4, -v6
	v_fmac_f32_e32 v5, v9, v4
	s_waitcnt lgkmcnt(0)
	v_mul_f32_e32 v4, v35, v31
	v_add_f32_e32 v2, v2, v6
	v_add_f32_e32 v3, v3, v5
	v_fma_f32 v4, v34, v30, -v4
	v_mul_f32_e32 v5, v34, v31
	v_fmac_f32_e32 v5, v35, v30
	v_add_f32_e32 v29, v2, v4
	v_mul_f32_e32 v2, v37, v33
	v_add_u32_e32 v40, 0x1800, v19
	v_add_f32_e32 v30, v3, v5
	v_fma_f32 v31, v36, v32, -v2
	ds_read_b128 v[2:5], v17 offset:192
	ds_read2_b64 v[6:9], v40 offset1:32
	v_mul_f32_e32 v33, v36, v33
	v_fmac_f32_e32 v33, v37, v32
	v_add_f32_e32 v34, v29, v31
	v_add_f32_e32 v33, v30, v33
	ds_read_b128 v[29:32], v17 offset:208
	s_waitcnt lgkmcnt(0)
	v_mul_f32_e32 v35, v7, v3
	v_mul_f32_e32 v3, v6, v3
	v_fma_f32 v35, v6, v2, -v35
	v_fmac_f32_e32 v3, v7, v2
	v_add_f32_e32 v2, v34, v35
	v_add_f32_e32 v3, v33, v3
	ds_read2_b64 v[33:36], v40 offset0:64 offset1:96
	v_mul_f32_e32 v6, v9, v5
	v_mul_f32_e32 v5, v8, v5
	v_fma_f32 v6, v8, v4, -v6
	v_fmac_f32_e32 v5, v9, v4
	s_waitcnt lgkmcnt(0)
	v_mul_f32_e32 v4, v34, v30
	v_add_f32_e32 v2, v2, v6
	v_add_f32_e32 v3, v3, v5
	v_fma_f32 v4, v33, v29, -v4
	v_mul_f32_e32 v5, v33, v30
	v_fmac_f32_e32 v5, v34, v29
	v_add_f32_e32 v29, v2, v4
	v_mul_f32_e32 v2, v36, v32
	v_add_f32_e32 v30, v3, v5
	v_fma_f32 v33, v35, v31, -v2
	ds_read_b128 v[2:5], v17 offset:224
	ds_read2_b64 v[6:9], v40 offset0:128 offset1:160
	v_mul_f32_e32 v32, v35, v32
	v_fmac_f32_e32 v32, v36, v31
	v_add_f32_e32 v33, v29, v33
	v_add_f32_e32 v34, v30, v32
	s_waitcnt lgkmcnt(0)
	v_mul_f32_e32 v35, v7, v3
	v_mul_f32_e32 v3, v6, v3
	v_fma_f32 v35, v6, v2, -v35
	v_fmac_f32_e32 v3, v7, v2
	ds_read_b128 v[29:32], v17 offset:240
	v_add_f32_e32 v2, v33, v35
	v_add_f32_e32 v3, v34, v3
	ds_read2_b64 v[33:36], v40 offset0:192 offset1:224
	v_mul_f32_e32 v6, v9, v5
	v_mul_f32_e32 v5, v8, v5
	v_fmac_f32_e32 v5, v9, v4
	v_fma_f32 v6, v8, v4, -v6
	v_add_f32_e32 v3, v3, v5
	s_waitcnt lgkmcnt(0)
	v_mul_f32_e32 v4, v34, v30
	v_mul_f32_e32 v5, v33, v30
	v_add_f32_e32 v2, v2, v6
	v_fma_f32 v4, v33, v29, -v4
	v_fmac_f32_e32 v5, v34, v29
	v_add_f32_e32 v2, v2, v4
	v_add_f32_e32 v3, v3, v5
	v_mul_f32_e32 v4, v36, v32
	v_mul_f32_e32 v5, v35, v32
	v_fma_f32 v4, v35, v31, -v4
	v_fmac_f32_e32 v5, v36, v31
	v_add_f32_e32 v2, v2, v4
	v_add_f32_e32 v3, v3, v5
	v_mul_f32_e32 v4, s24, v3
	v_mul_f32_e32 v5, s24, v2
	v_fma_f32 v4, s15, v2, -v4
	v_fmac_f32_e32 v5, s15, v3
	s_waitcnt vmcnt(0)
	v_add_f32_e32 v2, v38, v4
	v_add_f32_e32 v3, v39, v5
	flat_store_dwordx2 v[11:12], v[2:3]
	s_branch .LBB59_6
.LBB59_21:
	s_endpgm
	.section	.rodata,"a",@progbits
	.p2align	6, 0x0
	.amdhsa_kernel _ZL24rocblas_symm_hemm_kernelILb1ELb1ELi32E19rocblas_complex_numIfEPKPKS1_PKPS1_EvbiiT2_T3_lllSA_lllT4_llli
		.amdhsa_group_segment_fixed_size 16384
		.amdhsa_private_segment_fixed_size 0
		.amdhsa_kernarg_size 384
		.amdhsa_user_sgpr_count 6
		.amdhsa_user_sgpr_private_segment_buffer 1
		.amdhsa_user_sgpr_dispatch_ptr 0
		.amdhsa_user_sgpr_queue_ptr 0
		.amdhsa_user_sgpr_kernarg_segment_ptr 1
		.amdhsa_user_sgpr_dispatch_id 0
		.amdhsa_user_sgpr_flat_scratch_init 0
		.amdhsa_user_sgpr_private_segment_size 0
		.amdhsa_uses_dynamic_stack 0
		.amdhsa_system_sgpr_private_segment_wavefront_offset 0
		.amdhsa_system_sgpr_workgroup_id_x 1
		.amdhsa_system_sgpr_workgroup_id_y 1
		.amdhsa_system_sgpr_workgroup_id_z 1
		.amdhsa_system_sgpr_workgroup_info 0
		.amdhsa_system_vgpr_workitem_id 1
		.amdhsa_next_free_vgpr 42
		.amdhsa_next_free_sgpr 61
		.amdhsa_reserve_vcc 1
		.amdhsa_reserve_flat_scratch 0
		.amdhsa_float_round_mode_32 0
		.amdhsa_float_round_mode_16_64 0
		.amdhsa_float_denorm_mode_32 3
		.amdhsa_float_denorm_mode_16_64 3
		.amdhsa_dx10_clamp 1
		.amdhsa_ieee_mode 1
		.amdhsa_fp16_overflow 0
		.amdhsa_exception_fp_ieee_invalid_op 0
		.amdhsa_exception_fp_denorm_src 0
		.amdhsa_exception_fp_ieee_div_zero 0
		.amdhsa_exception_fp_ieee_overflow 0
		.amdhsa_exception_fp_ieee_underflow 0
		.amdhsa_exception_fp_ieee_inexact 0
		.amdhsa_exception_int_div_zero 0
	.end_amdhsa_kernel
	.section	.text._ZL24rocblas_symm_hemm_kernelILb1ELb1ELi32E19rocblas_complex_numIfEPKPKS1_PKPS1_EvbiiT2_T3_lllSA_lllT4_llli,"axG",@progbits,_ZL24rocblas_symm_hemm_kernelILb1ELb1ELi32E19rocblas_complex_numIfEPKPKS1_PKPS1_EvbiiT2_T3_lllSA_lllT4_llli,comdat
.Lfunc_end59:
	.size	_ZL24rocblas_symm_hemm_kernelILb1ELb1ELi32E19rocblas_complex_numIfEPKPKS1_PKPS1_EvbiiT2_T3_lllSA_lllT4_llli, .Lfunc_end59-_ZL24rocblas_symm_hemm_kernelILb1ELb1ELi32E19rocblas_complex_numIfEPKPKS1_PKPS1_EvbiiT2_T3_lllSA_lllT4_llli
                                        ; -- End function
	.set _ZL24rocblas_symm_hemm_kernelILb1ELb1ELi32E19rocblas_complex_numIfEPKPKS1_PKPS1_EvbiiT2_T3_lllSA_lllT4_llli.num_vgpr, 42
	.set _ZL24rocblas_symm_hemm_kernelILb1ELb1ELi32E19rocblas_complex_numIfEPKPKS1_PKPS1_EvbiiT2_T3_lllSA_lllT4_llli.num_agpr, 0
	.set _ZL24rocblas_symm_hemm_kernelILb1ELb1ELi32E19rocblas_complex_numIfEPKPKS1_PKPS1_EvbiiT2_T3_lllSA_lllT4_llli.numbered_sgpr, 32
	.set _ZL24rocblas_symm_hemm_kernelILb1ELb1ELi32E19rocblas_complex_numIfEPKPKS1_PKPS1_EvbiiT2_T3_lllSA_lllT4_llli.num_named_barrier, 0
	.set _ZL24rocblas_symm_hemm_kernelILb1ELb1ELi32E19rocblas_complex_numIfEPKPKS1_PKPS1_EvbiiT2_T3_lllSA_lllT4_llli.private_seg_size, 0
	.set _ZL24rocblas_symm_hemm_kernelILb1ELb1ELi32E19rocblas_complex_numIfEPKPKS1_PKPS1_EvbiiT2_T3_lllSA_lllT4_llli.uses_vcc, 1
	.set _ZL24rocblas_symm_hemm_kernelILb1ELb1ELi32E19rocblas_complex_numIfEPKPKS1_PKPS1_EvbiiT2_T3_lllSA_lllT4_llli.uses_flat_scratch, 0
	.set _ZL24rocblas_symm_hemm_kernelILb1ELb1ELi32E19rocblas_complex_numIfEPKPKS1_PKPS1_EvbiiT2_T3_lllSA_lllT4_llli.has_dyn_sized_stack, 0
	.set _ZL24rocblas_symm_hemm_kernelILb1ELb1ELi32E19rocblas_complex_numIfEPKPKS1_PKPS1_EvbiiT2_T3_lllSA_lllT4_llli.has_recursion, 0
	.set _ZL24rocblas_symm_hemm_kernelILb1ELb1ELi32E19rocblas_complex_numIfEPKPKS1_PKPS1_EvbiiT2_T3_lllSA_lllT4_llli.has_indirect_call, 0
	.section	.AMDGPU.csdata,"",@progbits
; Kernel info:
; codeLenInByte = 2260
; TotalNumSgprs: 36
; NumVgprs: 42
; ScratchSize: 0
; MemoryBound: 0
; FloatMode: 240
; IeeeMode: 1
; LDSByteSize: 16384 bytes/workgroup (compile time only)
; SGPRBlocks: 8
; VGPRBlocks: 10
; NumSGPRsForWavesPerEU: 65
; NumVGPRsForWavesPerEU: 42
; Occupancy: 5
; WaveLimiterHint : 1
; COMPUTE_PGM_RSRC2:SCRATCH_EN: 0
; COMPUTE_PGM_RSRC2:USER_SGPR: 6
; COMPUTE_PGM_RSRC2:TRAP_HANDLER: 0
; COMPUTE_PGM_RSRC2:TGID_X_EN: 1
; COMPUTE_PGM_RSRC2:TGID_Y_EN: 1
; COMPUTE_PGM_RSRC2:TGID_Z_EN: 1
; COMPUTE_PGM_RSRC2:TIDIG_COMP_CNT: 1
	.section	.text._ZL24rocblas_symm_hemm_kernelILb1ELb0ELi32EPK19rocblas_complex_numIdEPKS3_PKPS1_EvbiiT2_T3_lllSA_lllT4_llli,"axG",@progbits,_ZL24rocblas_symm_hemm_kernelILb1ELb0ELi32EPK19rocblas_complex_numIdEPKS3_PKPS1_EvbiiT2_T3_lllSA_lllT4_llli,comdat
	.globl	_ZL24rocblas_symm_hemm_kernelILb1ELb0ELi32EPK19rocblas_complex_numIdEPKS3_PKPS1_EvbiiT2_T3_lllSA_lllT4_llli ; -- Begin function _ZL24rocblas_symm_hemm_kernelILb1ELb0ELi32EPK19rocblas_complex_numIdEPKS3_PKPS1_EvbiiT2_T3_lllSA_lllT4_llli
	.p2align	8
	.type	_ZL24rocblas_symm_hemm_kernelILb1ELb0ELi32EPK19rocblas_complex_numIdEPKS3_PKPS1_EvbiiT2_T3_lllSA_lllT4_llli,@function
_ZL24rocblas_symm_hemm_kernelILb1ELb0ELi32EPK19rocblas_complex_numIdEPKS3_PKPS1_EvbiiT2_T3_lllSA_lllT4_llli: ; @_ZL24rocblas_symm_hemm_kernelILb1ELb0ELi32EPK19rocblas_complex_numIdEPKS3_PKPS1_EvbiiT2_T3_lllSA_lllT4_llli
; %bb.0:
	s_load_dwordx8 s[12:19], s[4:5], 0x10
	s_waitcnt lgkmcnt(0)
	s_load_dwordx4 s[20:23], s[12:13], 0x0
	s_waitcnt lgkmcnt(0)
	v_cmp_eq_f64_e64 s[0:1], s[20:21], 0
	v_cmp_eq_f64_e64 s[2:3], s[22:23], 0
	s_and_b64 s[0:1], s[0:1], s[2:3]
	s_and_b64 vcc, exec, s[0:1]
	s_cbranch_vccnz .LBB60_21
; %bb.1:
	s_load_dwordx4 s[24:27], s[4:5], 0x0
	s_waitcnt lgkmcnt(0)
	s_add_i32 s0, s26, -1
	s_ashr_i32 s1, s0, 31
	s_lshr_b32 s1, s1, 27
	s_add_i32 s0, s0, s1
	s_ashr_i32 s27, s0, 5
	s_cmp_gt_i32 s7, s27
	s_cbranch_scc1 .LBB60_21
; %bb.2:
	s_load_dwordx4 s[0:3], s[4:5], 0x38
	s_load_dwordx2 s[12:13], s[4:5], 0x48
	s_mov_b32 s9, 0
	s_lshl_b64 s[28:29], s[8:9], 3
	s_add_u32 s30, s14, s28
	s_addc_u32 s31, s15, s29
	s_waitcnt lgkmcnt(0)
	s_add_u32 s0, s0, s28
	s_addc_u32 s1, s1, s29
	s_load_dwordx2 s[34:35], s[0:1], 0x0
	s_load_dwordx4 s[8:11], s[4:5], 0x58
	s_load_dwordx2 s[14:15], s[4:5], 0x68
	s_lshl_b64 s[0:1], s[2:3], 4
	v_lshl_add_u32 v8, s6, 5, v0
	s_waitcnt lgkmcnt(0)
	s_add_u32 s33, s34, s0
	s_addc_u32 s34, s35, s1
	s_add_u32 s0, s8, s28
	s_addc_u32 s1, s9, s29
	s_load_dwordx2 s[2:3], s[0:1], 0x0
	s_load_dwordx2 s[8:9], s[30:31], 0x0
	s_bitcmp1_b32 s24, 0
	s_cselect_b64 s[0:1], -1, 0
	s_lshl_b64 s[10:11], s[10:11], 4
	s_waitcnt lgkmcnt(0)
	s_add_u32 s10, s2, s10
	s_addc_u32 s11, s3, s11
	s_lshl_b64 s[2:3], s[16:17], 4
	s_add_u32 s8, s8, s2
	v_ashrrev_i32_e32 v9, 31, v8
	s_addc_u32 s9, s9, s3
	v_lshlrev_b64 v[2:3], 4, v[8:9]
	v_mul_lo_u32 v7, s18, v9
	v_mul_lo_u32 v9, s19, v8
	v_mad_u64_u32 v[4:5], s[2:3], s18, v8, 0
	v_mov_b32_e32 v6, s9
	v_add_co_u32_e32 v15, vcc, s8, v2
	v_add3_u32 v5, v5, v7, v9
	v_lshlrev_b64 v[4:5], 4, v[4:5]
	v_addc_co_u32_e32 v16, vcc, v6, v3, vcc
	v_add_co_u32_e32 v17, vcc, s8, v4
	v_addc_co_u32_e32 v18, vcc, v6, v5, vcc
	v_lshlrev_b32_e32 v19, 9, v0
	v_lshlrev_b32_e32 v6, 4, v1
	s_load_dword s6, s[4:5], 0x84
	s_cmp_gt_i32 s25, 0
	v_add_u32_e32 v20, v19, v6
	v_or_b32_e32 v21, 0x4000, v6
	v_mov_b32_e32 v6, s11
	v_add_co_u32_e32 v23, vcc, s10, v2
	v_addc_co_u32_e32 v24, vcc, v6, v3, vcc
	s_cselect_b64 s[4:5], -1, 0
	v_add_co_u32_e32 v9, vcc, v15, v4
	v_cndmask_b32_e64 v2, 0, 1, s[4:5]
	v_add_u32_e32 v22, v21, v19
	v_cmp_gt_i32_e64 s[2:3], s25, v8
	v_addc_co_u32_e32 v10, vcc, v16, v5, vcc
	v_cmp_ne_u32_e64 s[4:5], 1, v2
	s_branch .LBB60_4
.LBB60_3:                               ;   in Loop: Header=BB60_4 Depth=1
	s_waitcnt lgkmcnt(0)
	s_add_i32 s7, s7, s6
	s_cmp_gt_i32 s7, s27
	s_cbranch_scc1 .LBB60_21
.LBB60_4:                               ; =>This Loop Header: Depth=1
                                        ;     Child Loop BB60_7 Depth 2
	s_and_b64 vcc, exec, s[4:5]
	s_cbranch_vccnz .LBB60_3
; %bb.5:                                ;   in Loop: Header=BB60_4 Depth=1
	v_lshl_add_u32 v4, s7, 5, v1
	v_ashrrev_i32_e32 v5, 31, v4
	v_mul_lo_u32 v6, s12, v5
	v_mul_lo_u32 v7, s13, v4
	v_mad_u64_u32 v[2:3], s[8:9], s12, v4, 0
	v_cmp_gt_i32_e32 vcc, s26, v4
	v_mul_lo_u32 v11, s15, v4
	v_add3_u32 v3, v3, v6, v7
	v_mul_lo_u32 v7, s14, v5
	v_mad_u64_u32 v[4:5], s[8:9], s14, v4, 0
	v_lshlrev_b64 v[2:3], 4, v[2:3]
	v_mov_b32_e32 v6, s34
	v_add_co_u32_e64 v25, s[8:9], s33, v2
	v_add3_u32 v5, v5, v7, v11
	v_addc_co_u32_e64 v26, s[8:9], v6, v3, s[8:9]
	v_lshlrev_b64 v[2:3], 4, v[4:5]
	s_and_b64 s[16:17], s[2:3], vcc
	v_add_co_u32_e64 v11, s[8:9], v23, v2
	v_addc_co_u32_e64 v12, s[8:9], v24, v3, s[8:9]
	s_mov_b32 s24, 0
	s_branch .LBB60_7
.LBB60_6:                               ;   in Loop: Header=BB60_7 Depth=2
	s_or_b64 exec, exec, s[8:9]
	s_add_i32 s24, s24, 32
	s_cmp_ge_i32 s24, s25
	s_waitcnt vmcnt(0) lgkmcnt(0)
	s_barrier
	s_cbranch_scc1 .LBB60_3
.LBB60_7:                               ;   Parent Loop BB60_4 Depth=1
                                        ; =>  This Inner Loop Header: Depth=2
	v_add_u32_e32 v13, s24, v1
	v_cndmask_b32_e64 v2, v13, v8, s[0:1]
	v_cndmask_b32_e64 v3, v8, v13, s[0:1]
	v_cmp_gt_i32_e64 s[10:11], v2, v3
	v_cmp_le_i32_e64 s[8:9], v2, v3
	v_cndmask_b32_e64 v2, v8, v13, s[10:11]
	v_cndmask_b32_e64 v3, v13, v8, s[10:11]
	v_max_i32_e32 v14, v2, v3
	v_mov_b32_e32 v2, 0
	v_mov_b32_e32 v4, 0
	;; [unrolled: 1-line block ×6, first 2 shown]
	v_cmp_gt_i32_e64 s[10:11], s25, v14
	s_and_saveexec_b64 s[28:29], s[10:11]
	s_cbranch_execz .LBB60_17
; %bb.8:                                ;   in Loop: Header=BB60_7 Depth=2
                                        ; implicit-def: $vgpr6_vgpr7
	s_and_saveexec_b64 s[10:11], s[8:9]
	s_xor_b64 s[10:11], exec, s[10:11]
	s_cbranch_execz .LBB60_14
; %bb.9:                                ;   in Loop: Header=BB60_7 Depth=2
	v_cmp_ne_u32_e64 s[8:9], v13, v8
                                        ; implicit-def: $vgpr6_vgpr7
	s_and_saveexec_b64 s[30:31], s[8:9]
	s_xor_b64 s[30:31], exec, s[30:31]
	s_cbranch_execz .LBB60_11
; %bb.10:                               ;   in Loop: Header=BB60_7 Depth=2
	v_ashrrev_i32_e32 v6, 31, v13
	v_mul_lo_u32 v7, s19, v13
	v_mad_u64_u32 v[4:5], s[8:9], s18, v13, 0
	v_mul_lo_u32 v6, s18, v6
	v_add3_u32 v5, v5, v6, v7
	v_lshlrev_b64 v[4:5], 4, v[4:5]
	v_add_co_u32_e64 v4, s[8:9], v15, v4
	v_addc_co_u32_e64 v5, s[8:9], v16, v5, s[8:9]
	flat_load_dwordx4 v[4:7], v[4:5]
.LBB60_11:                              ;   in Loop: Header=BB60_7 Depth=2
	s_andn2_saveexec_b64 s[8:9], s[30:31]
	s_cbranch_execz .LBB60_13
; %bb.12:                               ;   in Loop: Header=BB60_7 Depth=2
	s_waitcnt vmcnt(0) lgkmcnt(0)
	flat_load_dwordx2 v[4:5], v[9:10]
	v_mov_b32_e32 v6, 0
	v_mov_b32_e32 v7, 0
.LBB60_13:                              ;   in Loop: Header=BB60_7 Depth=2
	s_or_b64 exec, exec, s[8:9]
                                        ; implicit-def: $vgpr13
.LBB60_14:                              ;   in Loop: Header=BB60_7 Depth=2
	s_andn2_saveexec_b64 s[10:11], s[10:11]
	s_cbranch_execz .LBB60_16
; %bb.15:                               ;   in Loop: Header=BB60_7 Depth=2
	v_ashrrev_i32_e32 v14, 31, v13
	s_waitcnt vmcnt(0) lgkmcnt(0)
	v_lshlrev_b64 v[4:5], 4, v[13:14]
	v_add_co_u32_e64 v4, s[8:9], v17, v4
	v_addc_co_u32_e64 v5, s[8:9], v18, v5, s[8:9]
	flat_load_dwordx4 v[4:7], v[4:5]
	s_waitcnt vmcnt(0) lgkmcnt(0)
	v_xor_b32_e32 v7, 0x80000000, v7
.LBB60_16:                              ;   in Loop: Header=BB60_7 Depth=2
	s_or_b64 exec, exec, s[10:11]
.LBB60_17:                              ;   in Loop: Header=BB60_7 Depth=2
	s_or_b64 exec, exec, s[28:29]
	s_waitcnt vmcnt(0) lgkmcnt(0)
	ds_write_b128 v20, v[4:7]
	v_add_u32_e32 v6, s24, v0
	v_cmp_gt_i32_e64 s[8:9], s25, v6
	v_mov_b32_e32 v4, 0
	v_mov_b32_e32 v5, 0
	s_and_b64 s[8:9], s[8:9], vcc
	s_and_saveexec_b64 s[10:11], s[8:9]
	s_cbranch_execz .LBB60_19
; %bb.18:                               ;   in Loop: Header=BB60_7 Depth=2
	v_ashrrev_i32_e32 v7, 31, v6
	v_lshlrev_b64 v[2:3], 4, v[6:7]
	v_add_co_u32_e64 v2, s[8:9], v25, v2
	v_addc_co_u32_e64 v3, s[8:9], v26, v3, s[8:9]
	flat_load_dwordx4 v[2:5], v[2:3]
.LBB60_19:                              ;   in Loop: Header=BB60_7 Depth=2
	s_or_b64 exec, exec, s[10:11]
	s_waitcnt vmcnt(0) lgkmcnt(0)
	ds_write_b128 v22, v[2:5]
	s_waitcnt lgkmcnt(0)
	s_barrier
	s_and_saveexec_b64 s[8:9], s[16:17]
	s_cbranch_execz .LBB60_6
; %bb.20:                               ;   in Loop: Header=BB60_7 Depth=2
	ds_read_b128 v[27:30], v21
	ds_read_b128 v[31:34], v19
	ds_read_b128 v[35:38], v19 offset:16
	ds_read_b128 v[39:42], v19 offset:32
	;; [unrolled: 1-line block ×3, first 2 shown]
	s_waitcnt lgkmcnt(3)
	v_mul_f64 v[6:7], v[29:30], v[33:34]
	v_mul_f64 v[13:14], v[27:28], v[33:34]
	v_fma_f64 v[6:7], v[27:28], v[31:32], -v[6:7]
	v_fma_f64 v[13:14], v[29:30], v[31:32], v[13:14]
	ds_read_b128 v[27:30], v21 offset:512
	s_waitcnt lgkmcnt(0)
	v_mul_f64 v[31:32], v[29:30], v[37:38]
	v_add_f64 v[6:7], v[6:7], 0
	v_add_f64 v[13:14], v[13:14], 0
	v_fma_f64 v[31:32], v[27:28], v[35:36], -v[31:32]
	v_mul_f64 v[27:28], v[27:28], v[37:38]
	v_add_f64 v[6:7], v[6:7], v[31:32]
	v_fma_f64 v[27:28], v[29:30], v[35:36], v[27:28]
	v_add_f64 v[13:14], v[13:14], v[27:28]
	ds_read_b128 v[27:30], v21 offset:1024
	s_waitcnt lgkmcnt(0)
	v_mul_f64 v[31:32], v[29:30], v[41:42]
	v_fma_f64 v[31:32], v[27:28], v[39:40], -v[31:32]
	v_mul_f64 v[27:28], v[27:28], v[41:42]
	v_add_f64 v[6:7], v[6:7], v[31:32]
	v_fma_f64 v[27:28], v[29:30], v[39:40], v[27:28]
	v_add_f64 v[13:14], v[13:14], v[27:28]
	ds_read_b128 v[27:30], v21 offset:1536
	s_waitcnt lgkmcnt(0)
	v_mul_f64 v[31:32], v[29:30], v[4:5]
	v_mul_f64 v[4:5], v[27:28], v[4:5]
	v_fma_f64 v[31:32], v[27:28], v[2:3], -v[31:32]
	v_fma_f64 v[2:3], v[29:30], v[2:3], v[4:5]
	v_add_f64 v[6:7], v[6:7], v[31:32]
	v_add_f64 v[13:14], v[13:14], v[2:3]
	ds_read_b128 v[2:5], v21 offset:2048
	ds_read_b128 v[27:30], v19 offset:64
	s_waitcnt lgkmcnt(0)
	v_mul_f64 v[31:32], v[4:5], v[29:30]
	v_fma_f64 v[31:32], v[2:3], v[27:28], -v[31:32]
	v_mul_f64 v[2:3], v[2:3], v[29:30]
	v_add_f64 v[6:7], v[6:7], v[31:32]
	v_fma_f64 v[2:3], v[4:5], v[27:28], v[2:3]
	v_add_f64 v[13:14], v[13:14], v[2:3]
	ds_read_b128 v[2:5], v21 offset:2560
	ds_read_b128 v[27:30], v19 offset:80
	s_waitcnt lgkmcnt(0)
	v_mul_f64 v[31:32], v[4:5], v[29:30]
	v_fma_f64 v[31:32], v[2:3], v[27:28], -v[31:32]
	v_mul_f64 v[2:3], v[2:3], v[29:30]
	v_add_f64 v[6:7], v[6:7], v[31:32]
	v_fma_f64 v[2:3], v[4:5], v[27:28], v[2:3]
	;; [unrolled: 9-line block ×27, first 2 shown]
	v_add_f64 v[13:14], v[13:14], v[2:3]
	ds_read_b128 v[2:5], v21 offset:15872
	ds_read_b128 v[27:30], v19 offset:496
	s_waitcnt lgkmcnt(0)
	v_mul_f64 v[31:32], v[4:5], v[29:30]
	v_fma_f64 v[31:32], v[2:3], v[27:28], -v[31:32]
	v_mul_f64 v[2:3], v[2:3], v[29:30]
	v_fma_f64 v[2:3], v[4:5], v[27:28], v[2:3]
	flat_load_dwordx4 v[27:30], v[11:12]
	v_add_f64 v[4:5], v[6:7], v[31:32]
	v_add_f64 v[6:7], v[13:14], v[2:3]
	v_mul_f64 v[2:3], s[22:23], v[6:7]
	v_fma_f64 v[2:3], s[20:21], v[4:5], -v[2:3]
	v_mul_f64 v[4:5], s[22:23], v[4:5]
	v_fma_f64 v[4:5], s[20:21], v[6:7], v[4:5]
	s_waitcnt vmcnt(0) lgkmcnt(0)
	v_add_f64 v[2:3], v[27:28], v[2:3]
	v_add_f64 v[4:5], v[29:30], v[4:5]
	flat_store_dwordx4 v[11:12], v[2:5]
	s_branch .LBB60_6
.LBB60_21:
	s_endpgm
	.section	.rodata,"a",@progbits
	.p2align	6, 0x0
	.amdhsa_kernel _ZL24rocblas_symm_hemm_kernelILb1ELb0ELi32EPK19rocblas_complex_numIdEPKS3_PKPS1_EvbiiT2_T3_lllSA_lllT4_llli
		.amdhsa_group_segment_fixed_size 32768
		.amdhsa_private_segment_fixed_size 0
		.amdhsa_kernarg_size 384
		.amdhsa_user_sgpr_count 6
		.amdhsa_user_sgpr_private_segment_buffer 1
		.amdhsa_user_sgpr_dispatch_ptr 0
		.amdhsa_user_sgpr_queue_ptr 0
		.amdhsa_user_sgpr_kernarg_segment_ptr 1
		.amdhsa_user_sgpr_dispatch_id 0
		.amdhsa_user_sgpr_flat_scratch_init 0
		.amdhsa_user_sgpr_private_segment_size 0
		.amdhsa_uses_dynamic_stack 0
		.amdhsa_system_sgpr_private_segment_wavefront_offset 0
		.amdhsa_system_sgpr_workgroup_id_x 1
		.amdhsa_system_sgpr_workgroup_id_y 1
		.amdhsa_system_sgpr_workgroup_id_z 1
		.amdhsa_system_sgpr_workgroup_info 0
		.amdhsa_system_vgpr_workitem_id 1
		.amdhsa_next_free_vgpr 43
		.amdhsa_next_free_sgpr 61
		.amdhsa_reserve_vcc 1
		.amdhsa_reserve_flat_scratch 0
		.amdhsa_float_round_mode_32 0
		.amdhsa_float_round_mode_16_64 0
		.amdhsa_float_denorm_mode_32 3
		.amdhsa_float_denorm_mode_16_64 3
		.amdhsa_dx10_clamp 1
		.amdhsa_ieee_mode 1
		.amdhsa_fp16_overflow 0
		.amdhsa_exception_fp_ieee_invalid_op 0
		.amdhsa_exception_fp_denorm_src 0
		.amdhsa_exception_fp_ieee_div_zero 0
		.amdhsa_exception_fp_ieee_overflow 0
		.amdhsa_exception_fp_ieee_underflow 0
		.amdhsa_exception_fp_ieee_inexact 0
		.amdhsa_exception_int_div_zero 0
	.end_amdhsa_kernel
	.section	.text._ZL24rocblas_symm_hemm_kernelILb1ELb0ELi32EPK19rocblas_complex_numIdEPKS3_PKPS1_EvbiiT2_T3_lllSA_lllT4_llli,"axG",@progbits,_ZL24rocblas_symm_hemm_kernelILb1ELb0ELi32EPK19rocblas_complex_numIdEPKS3_PKPS1_EvbiiT2_T3_lllSA_lllT4_llli,comdat
.Lfunc_end60:
	.size	_ZL24rocblas_symm_hemm_kernelILb1ELb0ELi32EPK19rocblas_complex_numIdEPKS3_PKPS1_EvbiiT2_T3_lllSA_lllT4_llli, .Lfunc_end60-_ZL24rocblas_symm_hemm_kernelILb1ELb0ELi32EPK19rocblas_complex_numIdEPKS3_PKPS1_EvbiiT2_T3_lllSA_lllT4_llli
                                        ; -- End function
	.set _ZL24rocblas_symm_hemm_kernelILb1ELb0ELi32EPK19rocblas_complex_numIdEPKS3_PKPS1_EvbiiT2_T3_lllSA_lllT4_llli.num_vgpr, 43
	.set _ZL24rocblas_symm_hemm_kernelILb1ELb0ELi32EPK19rocblas_complex_numIdEPKS3_PKPS1_EvbiiT2_T3_lllSA_lllT4_llli.num_agpr, 0
	.set _ZL24rocblas_symm_hemm_kernelILb1ELb0ELi32EPK19rocblas_complex_numIdEPKS3_PKPS1_EvbiiT2_T3_lllSA_lllT4_llli.numbered_sgpr, 36
	.set _ZL24rocblas_symm_hemm_kernelILb1ELb0ELi32EPK19rocblas_complex_numIdEPKS3_PKPS1_EvbiiT2_T3_lllSA_lllT4_llli.num_named_barrier, 0
	.set _ZL24rocblas_symm_hemm_kernelILb1ELb0ELi32EPK19rocblas_complex_numIdEPKS3_PKPS1_EvbiiT2_T3_lllSA_lllT4_llli.private_seg_size, 0
	.set _ZL24rocblas_symm_hemm_kernelILb1ELb0ELi32EPK19rocblas_complex_numIdEPKS3_PKPS1_EvbiiT2_T3_lllSA_lllT4_llli.uses_vcc, 1
	.set _ZL24rocblas_symm_hemm_kernelILb1ELb0ELi32EPK19rocblas_complex_numIdEPKS3_PKPS1_EvbiiT2_T3_lllSA_lllT4_llli.uses_flat_scratch, 0
	.set _ZL24rocblas_symm_hemm_kernelILb1ELb0ELi32EPK19rocblas_complex_numIdEPKS3_PKPS1_EvbiiT2_T3_lllSA_lllT4_llli.has_dyn_sized_stack, 0
	.set _ZL24rocblas_symm_hemm_kernelILb1ELb0ELi32EPK19rocblas_complex_numIdEPKS3_PKPS1_EvbiiT2_T3_lllSA_lllT4_llli.has_recursion, 0
	.set _ZL24rocblas_symm_hemm_kernelILb1ELb0ELi32EPK19rocblas_complex_numIdEPKS3_PKPS1_EvbiiT2_T3_lllSA_lllT4_llli.has_indirect_call, 0
	.section	.AMDGPU.csdata,"",@progbits
; Kernel info:
; codeLenInByte = 3256
; TotalNumSgprs: 40
; NumVgprs: 43
; ScratchSize: 0
; MemoryBound: 1
; FloatMode: 240
; IeeeMode: 1
; LDSByteSize: 32768 bytes/workgroup (compile time only)
; SGPRBlocks: 8
; VGPRBlocks: 10
; NumSGPRsForWavesPerEU: 65
; NumVGPRsForWavesPerEU: 43
; Occupancy: 5
; WaveLimiterHint : 1
; COMPUTE_PGM_RSRC2:SCRATCH_EN: 0
; COMPUTE_PGM_RSRC2:USER_SGPR: 6
; COMPUTE_PGM_RSRC2:TRAP_HANDLER: 0
; COMPUTE_PGM_RSRC2:TGID_X_EN: 1
; COMPUTE_PGM_RSRC2:TGID_Y_EN: 1
; COMPUTE_PGM_RSRC2:TGID_Z_EN: 1
; COMPUTE_PGM_RSRC2:TIDIG_COMP_CNT: 1
	.section	.text._ZL24rocblas_symm_hemm_kernelILb1ELb1ELi32EPK19rocblas_complex_numIdEPKS3_PKPS1_EvbiiT2_T3_lllSA_lllT4_llli,"axG",@progbits,_ZL24rocblas_symm_hemm_kernelILb1ELb1ELi32EPK19rocblas_complex_numIdEPKS3_PKPS1_EvbiiT2_T3_lllSA_lllT4_llli,comdat
	.globl	_ZL24rocblas_symm_hemm_kernelILb1ELb1ELi32EPK19rocblas_complex_numIdEPKS3_PKPS1_EvbiiT2_T3_lllSA_lllT4_llli ; -- Begin function _ZL24rocblas_symm_hemm_kernelILb1ELb1ELi32EPK19rocblas_complex_numIdEPKS3_PKPS1_EvbiiT2_T3_lllSA_lllT4_llli
	.p2align	8
	.type	_ZL24rocblas_symm_hemm_kernelILb1ELb1ELi32EPK19rocblas_complex_numIdEPKS3_PKPS1_EvbiiT2_T3_lllSA_lllT4_llli,@function
_ZL24rocblas_symm_hemm_kernelILb1ELb1ELi32EPK19rocblas_complex_numIdEPKS3_PKPS1_EvbiiT2_T3_lllSA_lllT4_llli: ; @_ZL24rocblas_symm_hemm_kernelILb1ELb1ELi32EPK19rocblas_complex_numIdEPKS3_PKPS1_EvbiiT2_T3_lllSA_lllT4_llli
; %bb.0:
	s_load_dwordx8 s[12:19], s[4:5], 0x10
	s_waitcnt lgkmcnt(0)
	s_load_dwordx4 s[20:23], s[12:13], 0x0
	s_waitcnt lgkmcnt(0)
	v_cmp_eq_f64_e64 s[0:1], s[20:21], 0
	v_cmp_eq_f64_e64 s[2:3], s[22:23], 0
	s_and_b64 s[0:1], s[0:1], s[2:3]
	s_and_b64 vcc, exec, s[0:1]
	s_cbranch_vccnz .LBB61_21
; %bb.1:
	s_load_dwordx4 s[24:27], s[4:5], 0x0
	s_waitcnt lgkmcnt(0)
	s_add_i32 s0, s26, -1
	s_ashr_i32 s1, s0, 31
	s_lshr_b32 s1, s1, 27
	s_add_i32 s0, s0, s1
	s_ashr_i32 s27, s0, 5
	s_cmp_gt_i32 s7, s27
	s_cbranch_scc1 .LBB61_21
; %bb.2:
	s_mov_b32 s9, 0
	s_lshl_b64 s[8:9], s[8:9], 3
	s_add_u32 s14, s14, s8
	s_addc_u32 s15, s15, s9
	s_load_dwordx2 s[28:29], s[14:15], 0x0
	s_load_dwordx4 s[0:3], s[4:5], 0x38
	s_load_dwordx2 s[10:11], s[4:5], 0x48
	s_load_dwordx4 s[36:39], s[4:5], 0x58
	s_load_dwordx2 s[12:13], s[4:5], 0x68
	s_lshl_b64 s[14:15], s[16:17], 4
	s_waitcnt lgkmcnt(0)
	s_add_u32 s28, s28, s14
	s_addc_u32 s29, s29, s15
	s_add_u32 s0, s0, s8
	s_addc_u32 s1, s1, s9
	;; [unrolled: 2-line block ×3, first 2 shown]
	s_load_dwordx2 s[14:15], s[8:9], 0x0
	s_load_dwordx2 s[16:17], s[0:1], 0x0
	s_bitcmp1_b32 s24, 0
	s_cselect_b64 s[0:1], -1, 0
	s_lshl_b64 s[8:9], s[38:39], 4
	s_waitcnt lgkmcnt(0)
	s_add_u32 s14, s14, s8
	s_addc_u32 s15, s15, s9
	s_lshl_b64 s[2:3], s[2:3], 4
	v_lshl_add_u32 v2, s6, 5, v0
	s_add_u32 s16, s16, s2
	v_ashrrev_i32_e32 v3, 31, v2
	s_addc_u32 s17, s17, s3
	v_cmp_gt_i32_e64 s[2:3], s25, v2
	v_lshlrev_b64 v[2:3], 4, v[2:3]
	s_load_dword s6, s[4:5], 0x84
	v_mov_b32_e32 v4, s17
	v_add_co_u32_e32 v13, vcc, s16, v2
	s_cmp_gt_i32 s26, 0
	v_addc_co_u32_e32 v14, vcc, v4, v3, vcc
	s_cselect_b64 s[8:9], -1, 0
	v_lshlrev_b32_e32 v15, 9, v0
	v_lshlrev_b32_e32 v4, 4, v1
	v_add_co_u32_e32 v19, vcc, s14, v2
	v_lshl_add_u32 v2, s7, 5, v1
	v_add_u32_e32 v16, v15, v4
	v_or_b32_e32 v17, 0x4000, v4
	v_mov_b32_e32 v4, s15
	v_sub_u32_e32 v21, 0, v2
	v_cndmask_b32_e64 v2, 0, 1, s[8:9]
	v_add_u32_e32 v18, v17, v15
	v_addc_co_u32_e32 v20, vcc, v4, v3, vcc
	s_waitcnt lgkmcnt(0)
	s_lshl_b32 s30, s6, 5
	v_cmp_ne_u32_e64 s[4:5], 1, v2
	s_branch .LBB61_4
.LBB61_3:                               ;   in Loop: Header=BB61_4 Depth=1
	s_add_i32 s7, s7, s6
	s_cmp_gt_i32 s7, s27
	v_subrev_u32_e32 v21, s30, v21
	s_cbranch_scc1 .LBB61_21
.LBB61_4:                               ; =>This Loop Header: Depth=1
                                        ;     Child Loop BB61_7 Depth 2
	s_and_b64 vcc, exec, s[4:5]
	s_cbranch_vccnz .LBB61_3
; %bb.5:                                ;   in Loop: Header=BB61_4 Depth=1
	v_lshl_add_u32 v8, s7, 5, v1
	v_ashrrev_i32_e32 v9, 31, v8
	v_mul_lo_u32 v4, s19, v8
	v_mad_u64_u32 v[2:3], s[8:9], s18, v8, 0
	v_mul_lo_u32 v5, s18, v9
	v_mul_lo_u32 v7, s12, v9
	v_mov_b32_e32 v6, s29
	v_add_u32_e32 v26, v0, v21
	v_add3_u32 v3, v3, v5, v4
	v_lshlrev_b64 v[2:3], 4, v[2:3]
	v_mov_b32_e32 v4, s29
	v_add_co_u32_e32 v22, vcc, s28, v2
	v_addc_co_u32_e32 v23, vcc, v4, v3, vcc
	v_lshlrev_b64 v[2:3], 4, v[8:9]
	v_mul_lo_u32 v9, s13, v8
	v_mad_u64_u32 v[4:5], s[8:9], s12, v8, 0
	v_add_co_u32_e32 v24, vcc, s28, v2
	v_add3_u32 v5, v5, v7, v9
	v_addc_co_u32_e32 v25, vcc, v6, v3, vcc
	v_lshlrev_b64 v[4:5], 4, v[4:5]
	v_cmp_gt_i32_e32 vcc, s26, v8
	s_and_b64 s[14:15], s[2:3], vcc
	v_add_co_u32_e32 v9, vcc, v19, v4
	v_addc_co_u32_e32 v10, vcc, v20, v5, vcc
	v_add_co_u32_e32 v11, vcc, v22, v2
	v_addc_co_u32_e32 v12, vcc, v23, v3, vcc
	s_mov_b32 s31, 0
	s_branch .LBB61_7
.LBB61_6:                               ;   in Loop: Header=BB61_7 Depth=2
	s_or_b64 exec, exec, s[8:9]
	s_add_i32 s31, s31, 32
	s_cmp_ge_i32 s31, s26
	s_waitcnt vmcnt(0) lgkmcnt(0)
	s_barrier
	s_cbranch_scc1 .LBB61_3
.LBB61_7:                               ;   Parent Loop BB61_4 Depth=1
                                        ; =>  This Inner Loop Header: Depth=2
	v_add_u32_e32 v27, s31, v1
	v_cmp_gt_i32_e32 vcc, s26, v27
	v_mov_b32_e32 v2, 0
	v_mov_b32_e32 v4, 0
	v_mov_b32_e32 v6, 0
	v_mov_b32_e32 v3, 0
	v_mov_b32_e32 v5, 0
	v_mov_b32_e32 v7, 0
	s_and_b64 s[16:17], s[2:3], vcc
	s_and_saveexec_b64 s[8:9], s[16:17]
	s_cbranch_execz .LBB61_9
; %bb.8:                                ;   in Loop: Header=BB61_7 Depth=2
	v_ashrrev_i32_e32 v6, 31, v27
	v_mul_lo_u32 v7, s11, v27
	v_mad_u64_u32 v[4:5], s[16:17], s10, v27, 0
	v_mul_lo_u32 v6, s10, v6
	v_add3_u32 v5, v5, v6, v7
	v_lshlrev_b64 v[4:5], 4, v[4:5]
	v_add_co_u32_e32 v4, vcc, v13, v4
	v_addc_co_u32_e32 v5, vcc, v14, v5, vcc
	flat_load_dwordx4 v[4:7], v[4:5]
.LBB61_9:                               ;   in Loop: Header=BB61_7 Depth=2
	s_or_b64 exec, exec, s[8:9]
	s_waitcnt vmcnt(0) lgkmcnt(0)
	ds_write_b128 v16, v[4:7]
	v_add_u32_e32 v6, s31, v0
	v_cndmask_b32_e64 v4, v8, v6, s[0:1]
	v_cndmask_b32_e64 v5, v6, v8, s[0:1]
	v_cmp_gt_i32_e64 s[8:9], v4, v5
	v_cmp_le_i32_e32 vcc, v4, v5
	v_cndmask_b32_e64 v4, v6, v8, s[8:9]
	v_cndmask_b32_e64 v5, v8, v6, s[8:9]
	v_max_i32_e32 v7, v4, v5
	v_mov_b32_e32 v4, 0
	v_mov_b32_e32 v5, 0
	v_cmp_gt_i32_e64 s[8:9], s26, v7
	s_and_saveexec_b64 s[16:17], s[8:9]
	s_cbranch_execz .LBB61_19
; %bb.10:                               ;   in Loop: Header=BB61_7 Depth=2
                                        ; implicit-def: $vgpr4_vgpr5
	s_and_saveexec_b64 s[8:9], vcc
	s_xor_b64 s[8:9], exec, s[8:9]
	s_cbranch_execz .LBB61_16
; %bb.11:                               ;   in Loop: Header=BB61_7 Depth=2
	v_add_u32_e32 v2, s31, v26
	v_cmp_ne_u32_e32 vcc, 0, v2
                                        ; implicit-def: $vgpr4_vgpr5
	s_and_saveexec_b64 s[24:25], vcc
	s_xor_b64 s[24:25], exec, s[24:25]
	s_cbranch_execz .LBB61_13
; %bb.12:                               ;   in Loop: Header=BB61_7 Depth=2
	v_ashrrev_i32_e32 v7, 31, v6
	v_lshlrev_b64 v[2:3], 4, v[6:7]
	v_add_co_u32_e32 v2, vcc, v22, v2
	v_addc_co_u32_e32 v3, vcc, v23, v3, vcc
	flat_load_dwordx4 v[2:5], v[2:3]
.LBB61_13:                              ;   in Loop: Header=BB61_7 Depth=2
	s_andn2_saveexec_b64 s[24:25], s[24:25]
	s_cbranch_execz .LBB61_15
; %bb.14:                               ;   in Loop: Header=BB61_7 Depth=2
	s_waitcnt vmcnt(0) lgkmcnt(0)
	flat_load_dwordx2 v[2:3], v[11:12]
	v_mov_b32_e32 v4, 0
	v_mov_b32_e32 v5, 0
.LBB61_15:                              ;   in Loop: Header=BB61_7 Depth=2
	s_or_b64 exec, exec, s[24:25]
                                        ; implicit-def: $vgpr6
.LBB61_16:                              ;   in Loop: Header=BB61_7 Depth=2
	s_andn2_saveexec_b64 s[8:9], s[8:9]
	s_cbranch_execz .LBB61_18
; %bb.17:                               ;   in Loop: Header=BB61_7 Depth=2
	s_waitcnt vmcnt(0) lgkmcnt(0)
	v_ashrrev_i32_e32 v4, 31, v6
	v_mul_lo_u32 v5, s19, v6
	v_mad_u64_u32 v[2:3], s[24:25], s18, v6, 0
	v_mul_lo_u32 v4, s18, v4
	v_add3_u32 v3, v3, v4, v5
	v_lshlrev_b64 v[2:3], 4, v[2:3]
	v_add_co_u32_e32 v2, vcc, v24, v2
	v_addc_co_u32_e32 v3, vcc, v25, v3, vcc
	flat_load_dwordx4 v[2:5], v[2:3]
	s_waitcnt vmcnt(0) lgkmcnt(0)
	v_xor_b32_e32 v5, 0x80000000, v5
.LBB61_18:                              ;   in Loop: Header=BB61_7 Depth=2
	s_or_b64 exec, exec, s[8:9]
.LBB61_19:                              ;   in Loop: Header=BB61_7 Depth=2
	s_or_b64 exec, exec, s[16:17]
	s_waitcnt vmcnt(0) lgkmcnt(0)
	ds_write_b128 v18, v[2:5]
	s_waitcnt lgkmcnt(0)
	s_barrier
	s_and_saveexec_b64 s[8:9], s[14:15]
	s_cbranch_execz .LBB61_6
; %bb.20:                               ;   in Loop: Header=BB61_7 Depth=2
	ds_read_b128 v[27:30], v17
	ds_read_b128 v[31:34], v15
	ds_read_b128 v[35:38], v15 offset:16
	ds_read_b128 v[39:42], v15 offset:32
	;; [unrolled: 1-line block ×3, first 2 shown]
	s_waitcnt lgkmcnt(3)
	v_mul_f64 v[6:7], v[29:30], v[33:34]
	v_fma_f64 v[6:7], v[27:28], v[31:32], -v[6:7]
	v_mul_f64 v[27:28], v[27:28], v[33:34]
	v_add_f64 v[6:7], v[6:7], 0
	v_fma_f64 v[27:28], v[29:30], v[31:32], v[27:28]
	v_add_f64 v[31:32], v[27:28], 0
	ds_read_b128 v[27:30], v17 offset:512
	s_waitcnt lgkmcnt(0)
	v_mul_f64 v[33:34], v[29:30], v[37:38]
	v_fma_f64 v[33:34], v[27:28], v[35:36], -v[33:34]
	v_mul_f64 v[27:28], v[27:28], v[37:38]
	v_add_f64 v[6:7], v[6:7], v[33:34]
	v_fma_f64 v[27:28], v[29:30], v[35:36], v[27:28]
	v_add_f64 v[31:32], v[31:32], v[27:28]
	ds_read_b128 v[27:30], v17 offset:1024
	;; [unrolled: 8-line block ×3, first 2 shown]
	s_waitcnt lgkmcnt(0)
	v_mul_f64 v[33:34], v[29:30], v[4:5]
	v_mul_f64 v[4:5], v[27:28], v[4:5]
	v_fma_f64 v[33:34], v[27:28], v[2:3], -v[33:34]
	v_fma_f64 v[2:3], v[29:30], v[2:3], v[4:5]
	v_add_f64 v[6:7], v[6:7], v[33:34]
	v_add_f64 v[31:32], v[31:32], v[2:3]
	ds_read_b128 v[2:5], v17 offset:2048
	ds_read_b128 v[27:30], v15 offset:64
	s_waitcnt lgkmcnt(0)
	v_mul_f64 v[33:34], v[4:5], v[29:30]
	v_fma_f64 v[33:34], v[2:3], v[27:28], -v[33:34]
	v_mul_f64 v[2:3], v[2:3], v[29:30]
	v_add_f64 v[6:7], v[6:7], v[33:34]
	v_fma_f64 v[2:3], v[4:5], v[27:28], v[2:3]
	v_add_f64 v[31:32], v[31:32], v[2:3]
	ds_read_b128 v[2:5], v17 offset:2560
	ds_read_b128 v[27:30], v15 offset:80
	s_waitcnt lgkmcnt(0)
	v_mul_f64 v[33:34], v[4:5], v[29:30]
	v_fma_f64 v[33:34], v[2:3], v[27:28], -v[33:34]
	v_mul_f64 v[2:3], v[2:3], v[29:30]
	v_add_f64 v[6:7], v[6:7], v[33:34]
	v_fma_f64 v[2:3], v[4:5], v[27:28], v[2:3]
	v_add_f64 v[31:32], v[31:32], v[2:3]
	ds_read_b128 v[2:5], v17 offset:3072
	ds_read_b128 v[27:30], v15 offset:96
	s_waitcnt lgkmcnt(0)
	v_mul_f64 v[33:34], v[4:5], v[29:30]
	v_fma_f64 v[33:34], v[2:3], v[27:28], -v[33:34]
	v_mul_f64 v[2:3], v[2:3], v[29:30]
	v_add_f64 v[6:7], v[6:7], v[33:34]
	v_fma_f64 v[2:3], v[4:5], v[27:28], v[2:3]
	v_add_f64 v[31:32], v[31:32], v[2:3]
	ds_read_b128 v[2:5], v17 offset:3584
	ds_read_b128 v[27:30], v15 offset:112
	s_waitcnt lgkmcnt(0)
	v_mul_f64 v[33:34], v[4:5], v[29:30]
	v_fma_f64 v[33:34], v[2:3], v[27:28], -v[33:34]
	v_mul_f64 v[2:3], v[2:3], v[29:30]
	v_add_f64 v[6:7], v[6:7], v[33:34]
	v_fma_f64 v[2:3], v[4:5], v[27:28], v[2:3]
	v_add_f64 v[31:32], v[31:32], v[2:3]
	ds_read_b128 v[2:5], v17 offset:4096
	ds_read_b128 v[27:30], v15 offset:128
	s_waitcnt lgkmcnt(0)
	v_mul_f64 v[33:34], v[4:5], v[29:30]
	v_fma_f64 v[33:34], v[2:3], v[27:28], -v[33:34]
	v_mul_f64 v[2:3], v[2:3], v[29:30]
	v_add_f64 v[6:7], v[6:7], v[33:34]
	v_fma_f64 v[2:3], v[4:5], v[27:28], v[2:3]
	v_add_f64 v[31:32], v[31:32], v[2:3]
	ds_read_b128 v[2:5], v17 offset:4608
	ds_read_b128 v[27:30], v15 offset:144
	s_waitcnt lgkmcnt(0)
	v_mul_f64 v[33:34], v[4:5], v[29:30]
	v_fma_f64 v[33:34], v[2:3], v[27:28], -v[33:34]
	v_mul_f64 v[2:3], v[2:3], v[29:30]
	v_add_f64 v[6:7], v[6:7], v[33:34]
	v_fma_f64 v[2:3], v[4:5], v[27:28], v[2:3]
	v_add_f64 v[31:32], v[31:32], v[2:3]
	ds_read_b128 v[2:5], v17 offset:5120
	ds_read_b128 v[27:30], v15 offset:160
	s_waitcnt lgkmcnt(0)
	v_mul_f64 v[33:34], v[4:5], v[29:30]
	v_fma_f64 v[33:34], v[2:3], v[27:28], -v[33:34]
	v_mul_f64 v[2:3], v[2:3], v[29:30]
	v_add_f64 v[6:7], v[6:7], v[33:34]
	v_fma_f64 v[2:3], v[4:5], v[27:28], v[2:3]
	v_add_f64 v[31:32], v[31:32], v[2:3]
	ds_read_b128 v[2:5], v17 offset:5632
	ds_read_b128 v[27:30], v15 offset:176
	s_waitcnt lgkmcnt(0)
	v_mul_f64 v[33:34], v[4:5], v[29:30]
	v_fma_f64 v[33:34], v[2:3], v[27:28], -v[33:34]
	v_mul_f64 v[2:3], v[2:3], v[29:30]
	v_add_f64 v[6:7], v[6:7], v[33:34]
	v_fma_f64 v[2:3], v[4:5], v[27:28], v[2:3]
	v_add_f64 v[31:32], v[31:32], v[2:3]
	ds_read_b128 v[2:5], v17 offset:6144
	ds_read_b128 v[27:30], v15 offset:192
	s_waitcnt lgkmcnt(0)
	v_mul_f64 v[33:34], v[4:5], v[29:30]
	v_fma_f64 v[33:34], v[2:3], v[27:28], -v[33:34]
	v_mul_f64 v[2:3], v[2:3], v[29:30]
	v_add_f64 v[6:7], v[6:7], v[33:34]
	v_fma_f64 v[2:3], v[4:5], v[27:28], v[2:3]
	v_add_f64 v[31:32], v[31:32], v[2:3]
	ds_read_b128 v[2:5], v17 offset:6656
	ds_read_b128 v[27:30], v15 offset:208
	s_waitcnt lgkmcnt(0)
	v_mul_f64 v[33:34], v[4:5], v[29:30]
	v_fma_f64 v[33:34], v[2:3], v[27:28], -v[33:34]
	v_mul_f64 v[2:3], v[2:3], v[29:30]
	v_add_f64 v[6:7], v[6:7], v[33:34]
	v_fma_f64 v[2:3], v[4:5], v[27:28], v[2:3]
	v_add_f64 v[31:32], v[31:32], v[2:3]
	ds_read_b128 v[2:5], v17 offset:7168
	ds_read_b128 v[27:30], v15 offset:224
	s_waitcnt lgkmcnt(0)
	v_mul_f64 v[33:34], v[4:5], v[29:30]
	v_fma_f64 v[33:34], v[2:3], v[27:28], -v[33:34]
	v_mul_f64 v[2:3], v[2:3], v[29:30]
	v_add_f64 v[6:7], v[6:7], v[33:34]
	v_fma_f64 v[2:3], v[4:5], v[27:28], v[2:3]
	v_add_f64 v[31:32], v[31:32], v[2:3]
	ds_read_b128 v[2:5], v17 offset:7680
	ds_read_b128 v[27:30], v15 offset:240
	s_waitcnt lgkmcnt(0)
	v_mul_f64 v[33:34], v[4:5], v[29:30]
	v_fma_f64 v[33:34], v[2:3], v[27:28], -v[33:34]
	v_mul_f64 v[2:3], v[2:3], v[29:30]
	v_add_f64 v[6:7], v[6:7], v[33:34]
	v_fma_f64 v[2:3], v[4:5], v[27:28], v[2:3]
	v_add_f64 v[31:32], v[31:32], v[2:3]
	ds_read_b128 v[2:5], v17 offset:8192
	ds_read_b128 v[27:30], v15 offset:256
	s_waitcnt lgkmcnt(0)
	v_mul_f64 v[33:34], v[4:5], v[29:30]
	v_fma_f64 v[33:34], v[2:3], v[27:28], -v[33:34]
	v_mul_f64 v[2:3], v[2:3], v[29:30]
	v_add_f64 v[6:7], v[6:7], v[33:34]
	v_fma_f64 v[2:3], v[4:5], v[27:28], v[2:3]
	v_add_f64 v[31:32], v[31:32], v[2:3]
	ds_read_b128 v[2:5], v17 offset:8704
	ds_read_b128 v[27:30], v15 offset:272
	s_waitcnt lgkmcnt(0)
	v_mul_f64 v[33:34], v[4:5], v[29:30]
	v_fma_f64 v[33:34], v[2:3], v[27:28], -v[33:34]
	v_mul_f64 v[2:3], v[2:3], v[29:30]
	v_add_f64 v[6:7], v[6:7], v[33:34]
	v_fma_f64 v[2:3], v[4:5], v[27:28], v[2:3]
	v_add_f64 v[31:32], v[31:32], v[2:3]
	ds_read_b128 v[2:5], v17 offset:9216
	ds_read_b128 v[27:30], v15 offset:288
	s_waitcnt lgkmcnt(0)
	v_mul_f64 v[33:34], v[4:5], v[29:30]
	v_fma_f64 v[33:34], v[2:3], v[27:28], -v[33:34]
	v_mul_f64 v[2:3], v[2:3], v[29:30]
	v_add_f64 v[6:7], v[6:7], v[33:34]
	v_fma_f64 v[2:3], v[4:5], v[27:28], v[2:3]
	v_add_f64 v[31:32], v[31:32], v[2:3]
	ds_read_b128 v[2:5], v17 offset:9728
	ds_read_b128 v[27:30], v15 offset:304
	s_waitcnt lgkmcnt(0)
	v_mul_f64 v[33:34], v[4:5], v[29:30]
	v_fma_f64 v[33:34], v[2:3], v[27:28], -v[33:34]
	v_mul_f64 v[2:3], v[2:3], v[29:30]
	v_add_f64 v[6:7], v[6:7], v[33:34]
	v_fma_f64 v[2:3], v[4:5], v[27:28], v[2:3]
	v_add_f64 v[31:32], v[31:32], v[2:3]
	ds_read_b128 v[2:5], v17 offset:10240
	ds_read_b128 v[27:30], v15 offset:320
	s_waitcnt lgkmcnt(0)
	v_mul_f64 v[33:34], v[4:5], v[29:30]
	v_fma_f64 v[33:34], v[2:3], v[27:28], -v[33:34]
	v_mul_f64 v[2:3], v[2:3], v[29:30]
	v_add_f64 v[6:7], v[6:7], v[33:34]
	v_fma_f64 v[2:3], v[4:5], v[27:28], v[2:3]
	v_add_f64 v[31:32], v[31:32], v[2:3]
	ds_read_b128 v[2:5], v17 offset:10752
	ds_read_b128 v[27:30], v15 offset:336
	s_waitcnt lgkmcnt(0)
	v_mul_f64 v[33:34], v[4:5], v[29:30]
	v_fma_f64 v[33:34], v[2:3], v[27:28], -v[33:34]
	v_mul_f64 v[2:3], v[2:3], v[29:30]
	v_add_f64 v[6:7], v[6:7], v[33:34]
	v_fma_f64 v[2:3], v[4:5], v[27:28], v[2:3]
	v_add_f64 v[31:32], v[31:32], v[2:3]
	ds_read_b128 v[2:5], v17 offset:11264
	ds_read_b128 v[27:30], v15 offset:352
	s_waitcnt lgkmcnt(0)
	v_mul_f64 v[33:34], v[4:5], v[29:30]
	v_fma_f64 v[33:34], v[2:3], v[27:28], -v[33:34]
	v_mul_f64 v[2:3], v[2:3], v[29:30]
	v_add_f64 v[6:7], v[6:7], v[33:34]
	v_fma_f64 v[2:3], v[4:5], v[27:28], v[2:3]
	v_add_f64 v[31:32], v[31:32], v[2:3]
	ds_read_b128 v[2:5], v17 offset:11776
	ds_read_b128 v[27:30], v15 offset:368
	s_waitcnt lgkmcnt(0)
	v_mul_f64 v[33:34], v[4:5], v[29:30]
	v_fma_f64 v[33:34], v[2:3], v[27:28], -v[33:34]
	v_mul_f64 v[2:3], v[2:3], v[29:30]
	v_add_f64 v[6:7], v[6:7], v[33:34]
	v_fma_f64 v[2:3], v[4:5], v[27:28], v[2:3]
	v_add_f64 v[31:32], v[31:32], v[2:3]
	ds_read_b128 v[2:5], v17 offset:12288
	ds_read_b128 v[27:30], v15 offset:384
	s_waitcnt lgkmcnt(0)
	v_mul_f64 v[33:34], v[4:5], v[29:30]
	v_fma_f64 v[33:34], v[2:3], v[27:28], -v[33:34]
	v_mul_f64 v[2:3], v[2:3], v[29:30]
	v_add_f64 v[6:7], v[6:7], v[33:34]
	v_fma_f64 v[2:3], v[4:5], v[27:28], v[2:3]
	v_add_f64 v[31:32], v[31:32], v[2:3]
	ds_read_b128 v[2:5], v17 offset:12800
	ds_read_b128 v[27:30], v15 offset:400
	s_waitcnt lgkmcnt(0)
	v_mul_f64 v[33:34], v[4:5], v[29:30]
	v_fma_f64 v[33:34], v[2:3], v[27:28], -v[33:34]
	v_mul_f64 v[2:3], v[2:3], v[29:30]
	v_add_f64 v[6:7], v[6:7], v[33:34]
	v_fma_f64 v[2:3], v[4:5], v[27:28], v[2:3]
	v_add_f64 v[31:32], v[31:32], v[2:3]
	ds_read_b128 v[2:5], v17 offset:13312
	ds_read_b128 v[27:30], v15 offset:416
	s_waitcnt lgkmcnt(0)
	v_mul_f64 v[33:34], v[4:5], v[29:30]
	v_fma_f64 v[33:34], v[2:3], v[27:28], -v[33:34]
	v_mul_f64 v[2:3], v[2:3], v[29:30]
	v_add_f64 v[6:7], v[6:7], v[33:34]
	v_fma_f64 v[2:3], v[4:5], v[27:28], v[2:3]
	v_add_f64 v[31:32], v[31:32], v[2:3]
	ds_read_b128 v[2:5], v17 offset:13824
	ds_read_b128 v[27:30], v15 offset:432
	s_waitcnt lgkmcnt(0)
	v_mul_f64 v[33:34], v[4:5], v[29:30]
	v_fma_f64 v[33:34], v[2:3], v[27:28], -v[33:34]
	v_mul_f64 v[2:3], v[2:3], v[29:30]
	v_add_f64 v[6:7], v[6:7], v[33:34]
	v_fma_f64 v[2:3], v[4:5], v[27:28], v[2:3]
	v_add_f64 v[31:32], v[31:32], v[2:3]
	ds_read_b128 v[2:5], v17 offset:14336
	ds_read_b128 v[27:30], v15 offset:448
	s_waitcnt lgkmcnt(0)
	v_mul_f64 v[33:34], v[4:5], v[29:30]
	v_fma_f64 v[33:34], v[2:3], v[27:28], -v[33:34]
	v_mul_f64 v[2:3], v[2:3], v[29:30]
	v_add_f64 v[6:7], v[6:7], v[33:34]
	v_fma_f64 v[2:3], v[4:5], v[27:28], v[2:3]
	v_add_f64 v[31:32], v[31:32], v[2:3]
	ds_read_b128 v[2:5], v17 offset:14848
	ds_read_b128 v[27:30], v15 offset:464
	s_waitcnt lgkmcnt(0)
	v_mul_f64 v[33:34], v[4:5], v[29:30]
	v_fma_f64 v[33:34], v[2:3], v[27:28], -v[33:34]
	v_mul_f64 v[2:3], v[2:3], v[29:30]
	v_add_f64 v[6:7], v[6:7], v[33:34]
	v_fma_f64 v[2:3], v[4:5], v[27:28], v[2:3]
	v_add_f64 v[31:32], v[31:32], v[2:3]
	ds_read_b128 v[2:5], v17 offset:15360
	ds_read_b128 v[27:30], v15 offset:480
	s_waitcnt lgkmcnt(0)
	v_mul_f64 v[33:34], v[4:5], v[29:30]
	v_fma_f64 v[33:34], v[2:3], v[27:28], -v[33:34]
	v_mul_f64 v[2:3], v[2:3], v[29:30]
	v_add_f64 v[6:7], v[6:7], v[33:34]
	v_fma_f64 v[2:3], v[4:5], v[27:28], v[2:3]
	v_add_f64 v[31:32], v[31:32], v[2:3]
	ds_read_b128 v[2:5], v17 offset:15872
	ds_read_b128 v[27:30], v15 offset:496
	s_waitcnt lgkmcnt(0)
	v_mul_f64 v[33:34], v[4:5], v[29:30]
	v_fma_f64 v[33:34], v[2:3], v[27:28], -v[33:34]
	v_mul_f64 v[2:3], v[2:3], v[29:30]
	v_fma_f64 v[2:3], v[4:5], v[27:28], v[2:3]
	flat_load_dwordx4 v[27:30], v[9:10]
	v_add_f64 v[4:5], v[6:7], v[33:34]
	v_add_f64 v[6:7], v[31:32], v[2:3]
	v_mul_f64 v[2:3], s[22:23], v[6:7]
	v_fma_f64 v[2:3], s[20:21], v[4:5], -v[2:3]
	v_mul_f64 v[4:5], s[22:23], v[4:5]
	v_fma_f64 v[4:5], s[20:21], v[6:7], v[4:5]
	s_waitcnt vmcnt(0) lgkmcnt(0)
	v_add_f64 v[2:3], v[27:28], v[2:3]
	v_add_f64 v[4:5], v[29:30], v[4:5]
	flat_store_dwordx4 v[9:10], v[2:5]
	s_branch .LBB61_6
.LBB61_21:
	s_endpgm
	.section	.rodata,"a",@progbits
	.p2align	6, 0x0
	.amdhsa_kernel _ZL24rocblas_symm_hemm_kernelILb1ELb1ELi32EPK19rocblas_complex_numIdEPKS3_PKPS1_EvbiiT2_T3_lllSA_lllT4_llli
		.amdhsa_group_segment_fixed_size 32768
		.amdhsa_private_segment_fixed_size 0
		.amdhsa_kernarg_size 384
		.amdhsa_user_sgpr_count 6
		.amdhsa_user_sgpr_private_segment_buffer 1
		.amdhsa_user_sgpr_dispatch_ptr 0
		.amdhsa_user_sgpr_queue_ptr 0
		.amdhsa_user_sgpr_kernarg_segment_ptr 1
		.amdhsa_user_sgpr_dispatch_id 0
		.amdhsa_user_sgpr_flat_scratch_init 0
		.amdhsa_user_sgpr_private_segment_size 0
		.amdhsa_uses_dynamic_stack 0
		.amdhsa_system_sgpr_private_segment_wavefront_offset 0
		.amdhsa_system_sgpr_workgroup_id_x 1
		.amdhsa_system_sgpr_workgroup_id_y 1
		.amdhsa_system_sgpr_workgroup_id_z 1
		.amdhsa_system_sgpr_workgroup_info 0
		.amdhsa_system_vgpr_workitem_id 1
		.amdhsa_next_free_vgpr 43
		.amdhsa_next_free_sgpr 61
		.amdhsa_reserve_vcc 1
		.amdhsa_reserve_flat_scratch 0
		.amdhsa_float_round_mode_32 0
		.amdhsa_float_round_mode_16_64 0
		.amdhsa_float_denorm_mode_32 3
		.amdhsa_float_denorm_mode_16_64 3
		.amdhsa_dx10_clamp 1
		.amdhsa_ieee_mode 1
		.amdhsa_fp16_overflow 0
		.amdhsa_exception_fp_ieee_invalid_op 0
		.amdhsa_exception_fp_denorm_src 0
		.amdhsa_exception_fp_ieee_div_zero 0
		.amdhsa_exception_fp_ieee_overflow 0
		.amdhsa_exception_fp_ieee_underflow 0
		.amdhsa_exception_fp_ieee_inexact 0
		.amdhsa_exception_int_div_zero 0
	.end_amdhsa_kernel
	.section	.text._ZL24rocblas_symm_hemm_kernelILb1ELb1ELi32EPK19rocblas_complex_numIdEPKS3_PKPS1_EvbiiT2_T3_lllSA_lllT4_llli,"axG",@progbits,_ZL24rocblas_symm_hemm_kernelILb1ELb1ELi32EPK19rocblas_complex_numIdEPKS3_PKPS1_EvbiiT2_T3_lllSA_lllT4_llli,comdat
.Lfunc_end61:
	.size	_ZL24rocblas_symm_hemm_kernelILb1ELb1ELi32EPK19rocblas_complex_numIdEPKS3_PKPS1_EvbiiT2_T3_lllSA_lllT4_llli, .Lfunc_end61-_ZL24rocblas_symm_hemm_kernelILb1ELb1ELi32EPK19rocblas_complex_numIdEPKS3_PKPS1_EvbiiT2_T3_lllSA_lllT4_llli
                                        ; -- End function
	.set _ZL24rocblas_symm_hemm_kernelILb1ELb1ELi32EPK19rocblas_complex_numIdEPKS3_PKPS1_EvbiiT2_T3_lllSA_lllT4_llli.num_vgpr, 43
	.set _ZL24rocblas_symm_hemm_kernelILb1ELb1ELi32EPK19rocblas_complex_numIdEPKS3_PKPS1_EvbiiT2_T3_lllSA_lllT4_llli.num_agpr, 0
	.set _ZL24rocblas_symm_hemm_kernelILb1ELb1ELi32EPK19rocblas_complex_numIdEPKS3_PKPS1_EvbiiT2_T3_lllSA_lllT4_llli.numbered_sgpr, 40
	.set _ZL24rocblas_symm_hemm_kernelILb1ELb1ELi32EPK19rocblas_complex_numIdEPKS3_PKPS1_EvbiiT2_T3_lllSA_lllT4_llli.num_named_barrier, 0
	.set _ZL24rocblas_symm_hemm_kernelILb1ELb1ELi32EPK19rocblas_complex_numIdEPKS3_PKPS1_EvbiiT2_T3_lllSA_lllT4_llli.private_seg_size, 0
	.set _ZL24rocblas_symm_hemm_kernelILb1ELb1ELi32EPK19rocblas_complex_numIdEPKS3_PKPS1_EvbiiT2_T3_lllSA_lllT4_llli.uses_vcc, 1
	.set _ZL24rocblas_symm_hemm_kernelILb1ELb1ELi32EPK19rocblas_complex_numIdEPKS3_PKPS1_EvbiiT2_T3_lllSA_lllT4_llli.uses_flat_scratch, 0
	.set _ZL24rocblas_symm_hemm_kernelILb1ELb1ELi32EPK19rocblas_complex_numIdEPKS3_PKPS1_EvbiiT2_T3_lllSA_lllT4_llli.has_dyn_sized_stack, 0
	.set _ZL24rocblas_symm_hemm_kernelILb1ELb1ELi32EPK19rocblas_complex_numIdEPKS3_PKPS1_EvbiiT2_T3_lllSA_lllT4_llli.has_recursion, 0
	.set _ZL24rocblas_symm_hemm_kernelILb1ELb1ELi32EPK19rocblas_complex_numIdEPKS3_PKPS1_EvbiiT2_T3_lllSA_lllT4_llli.has_indirect_call, 0
	.section	.AMDGPU.csdata,"",@progbits
; Kernel info:
; codeLenInByte = 3232
; TotalNumSgprs: 44
; NumVgprs: 43
; ScratchSize: 0
; MemoryBound: 1
; FloatMode: 240
; IeeeMode: 1
; LDSByteSize: 32768 bytes/workgroup (compile time only)
; SGPRBlocks: 8
; VGPRBlocks: 10
; NumSGPRsForWavesPerEU: 65
; NumVGPRsForWavesPerEU: 43
; Occupancy: 5
; WaveLimiterHint : 1
; COMPUTE_PGM_RSRC2:SCRATCH_EN: 0
; COMPUTE_PGM_RSRC2:USER_SGPR: 6
; COMPUTE_PGM_RSRC2:TRAP_HANDLER: 0
; COMPUTE_PGM_RSRC2:TGID_X_EN: 1
; COMPUTE_PGM_RSRC2:TGID_Y_EN: 1
; COMPUTE_PGM_RSRC2:TGID_Z_EN: 1
; COMPUTE_PGM_RSRC2:TIDIG_COMP_CNT: 1
	.section	.text._ZL24rocblas_symm_hemm_kernelILb1ELb0ELi32E19rocblas_complex_numIdEPKPKS1_PKPS1_EvbiiT2_T3_lllSA_lllT4_llli,"axG",@progbits,_ZL24rocblas_symm_hemm_kernelILb1ELb0ELi32E19rocblas_complex_numIdEPKPKS1_PKPS1_EvbiiT2_T3_lllSA_lllT4_llli,comdat
	.globl	_ZL24rocblas_symm_hemm_kernelILb1ELb0ELi32E19rocblas_complex_numIdEPKPKS1_PKPS1_EvbiiT2_T3_lllSA_lllT4_llli ; -- Begin function _ZL24rocblas_symm_hemm_kernelILb1ELb0ELi32E19rocblas_complex_numIdEPKPKS1_PKPS1_EvbiiT2_T3_lllSA_lllT4_llli
	.p2align	8
	.type	_ZL24rocblas_symm_hemm_kernelILb1ELb0ELi32E19rocblas_complex_numIdEPKPKS1_PKPS1_EvbiiT2_T3_lllSA_lllT4_llli,@function
_ZL24rocblas_symm_hemm_kernelILb1ELb0ELi32E19rocblas_complex_numIdEPKPKS1_PKPS1_EvbiiT2_T3_lllSA_lllT4_llli: ; @_ZL24rocblas_symm_hemm_kernelILb1ELb0ELi32E19rocblas_complex_numIdEPKPKS1_PKPS1_EvbiiT2_T3_lllSA_lllT4_llli
; %bb.0:
	s_load_dwordx8 s[12:19], s[4:5], 0x10
	s_waitcnt lgkmcnt(0)
	v_cmp_eq_f64_e64 s[0:1], s[12:13], 0
	v_cmp_eq_f64_e64 s[2:3], s[14:15], 0
	s_and_b64 s[0:1], s[0:1], s[2:3]
	s_and_b64 vcc, exec, s[0:1]
	s_cbranch_vccnz .LBB62_21
; %bb.1:
	s_load_dwordx4 s[20:23], s[4:5], 0x0
	s_waitcnt lgkmcnt(0)
	s_add_i32 s0, s22, -1
	s_ashr_i32 s1, s0, 31
	s_lshr_b32 s1, s1, 27
	s_add_i32 s0, s0, s1
	s_ashr_i32 s23, s0, 5
	s_cmp_gt_i32 s7, s23
	s_cbranch_scc1 .LBB62_21
; %bb.2:
	s_load_dwordx4 s[0:3], s[4:5], 0x40
	s_mov_b32 s9, 0
	s_lshl_b64 s[26:27], s[8:9], 3
	s_add_u32 s28, s16, s26
	s_addc_u32 s29, s17, s27
	s_waitcnt lgkmcnt(0)
	s_add_u32 s0, s0, s26
	s_addc_u32 s1, s1, s27
	s_load_dwordx2 s[30:31], s[0:1], 0x0
	s_load_dwordx2 s[16:17], s[4:5], 0x30
	s_load_dwordx4 s[8:11], s[4:5], 0x60
	s_load_dwordx2 s[24:25], s[4:5], 0x50
	s_lshl_b64 s[0:1], s[2:3], 4
	s_waitcnt lgkmcnt(0)
	s_add_u32 s33, s30, s0
	s_addc_u32 s34, s31, s1
	s_add_u32 s0, s8, s26
	s_addc_u32 s1, s9, s27
	s_load_dwordx2 s[2:3], s[0:1], 0x0
	s_load_dwordx2 s[8:9], s[28:29], 0x0
	s_bitcmp1_b32 s20, 0
	s_cselect_b64 s[0:1], -1, 0
	s_lshl_b64 s[10:11], s[10:11], 4
	s_waitcnt lgkmcnt(0)
	s_add_u32 s10, s2, s10
	s_addc_u32 s11, s3, s11
	s_lshl_b64 s[2:3], s[18:19], 4
	v_lshl_add_u32 v8, s6, 5, v0
	s_add_u32 s8, s8, s2
	v_ashrrev_i32_e32 v9, 31, v8
	s_addc_u32 s9, s9, s3
	v_lshlrev_b64 v[2:3], 4, v[8:9]
	v_mul_lo_u32 v7, s16, v9
	v_mul_lo_u32 v9, s17, v8
	v_mad_u64_u32 v[4:5], s[2:3], s16, v8, 0
	v_mov_b32_e32 v6, s9
	v_add_co_u32_e32 v15, vcc, s8, v2
	v_add3_u32 v5, v5, v7, v9
	v_lshlrev_b64 v[4:5], 4, v[4:5]
	v_addc_co_u32_e32 v16, vcc, v6, v3, vcc
	v_add_co_u32_e32 v17, vcc, s8, v4
	v_addc_co_u32_e32 v18, vcc, v6, v5, vcc
	v_lshlrev_b32_e32 v19, 9, v0
	v_lshlrev_b32_e32 v6, 4, v1
	s_load_dwordx2 s[18:19], s[4:5], 0x70
	s_load_dword s6, s[4:5], 0x8c
	s_cmp_gt_i32 s21, 0
	v_add_u32_e32 v20, v19, v6
	v_or_b32_e32 v21, 0x4000, v6
	v_mov_b32_e32 v6, s11
	v_add_co_u32_e32 v23, vcc, s10, v2
	v_addc_co_u32_e32 v24, vcc, v6, v3, vcc
	s_cselect_b64 s[4:5], -1, 0
	v_add_co_u32_e32 v9, vcc, v15, v4
	v_cndmask_b32_e64 v2, 0, 1, s[4:5]
	v_add_u32_e32 v22, v21, v19
	v_cmp_gt_i32_e64 s[2:3], s21, v8
	v_addc_co_u32_e32 v10, vcc, v16, v5, vcc
	v_cmp_ne_u32_e64 s[4:5], 1, v2
	s_branch .LBB62_4
.LBB62_3:                               ;   in Loop: Header=BB62_4 Depth=1
	s_waitcnt lgkmcnt(0)
	s_add_i32 s7, s7, s6
	s_cmp_gt_i32 s7, s23
	s_cbranch_scc1 .LBB62_21
.LBB62_4:                               ; =>This Loop Header: Depth=1
                                        ;     Child Loop BB62_7 Depth 2
	s_and_b64 vcc, exec, s[4:5]
	s_cbranch_vccnz .LBB62_3
; %bb.5:                                ;   in Loop: Header=BB62_4 Depth=1
	v_lshl_add_u32 v4, s7, 5, v1
	v_ashrrev_i32_e32 v5, 31, v4
	v_mul_lo_u32 v6, s24, v5
	v_mul_lo_u32 v7, s25, v4
	v_mad_u64_u32 v[2:3], s[8:9], s24, v4, 0
	v_cmp_gt_i32_e32 vcc, s22, v4
	s_waitcnt lgkmcnt(0)
	v_mul_lo_u32 v11, s19, v4
	v_add3_u32 v3, v3, v6, v7
	v_mul_lo_u32 v7, s18, v5
	v_mad_u64_u32 v[4:5], s[8:9], s18, v4, 0
	v_lshlrev_b64 v[2:3], 4, v[2:3]
	v_mov_b32_e32 v6, s34
	v_add_co_u32_e64 v25, s[8:9], s33, v2
	v_add3_u32 v5, v5, v7, v11
	v_addc_co_u32_e64 v26, s[8:9], v6, v3, s[8:9]
	v_lshlrev_b64 v[2:3], 4, v[4:5]
	s_and_b64 s[26:27], s[2:3], vcc
	v_add_co_u32_e64 v11, s[8:9], v23, v2
	v_addc_co_u32_e64 v12, s[8:9], v24, v3, s[8:9]
	s_mov_b32 s20, 0
	s_branch .LBB62_7
.LBB62_6:                               ;   in Loop: Header=BB62_7 Depth=2
	s_or_b64 exec, exec, s[8:9]
	s_add_i32 s20, s20, 32
	s_cmp_ge_i32 s20, s21
	s_waitcnt vmcnt(0) lgkmcnt(0)
	s_barrier
	s_cbranch_scc1 .LBB62_3
.LBB62_7:                               ;   Parent Loop BB62_4 Depth=1
                                        ; =>  This Inner Loop Header: Depth=2
	v_add_u32_e32 v13, s20, v1
	v_cndmask_b32_e64 v2, v13, v8, s[0:1]
	v_cndmask_b32_e64 v3, v8, v13, s[0:1]
	v_cmp_gt_i32_e64 s[10:11], v2, v3
	v_cmp_le_i32_e64 s[8:9], v2, v3
	v_cndmask_b32_e64 v2, v8, v13, s[10:11]
	v_cndmask_b32_e64 v3, v13, v8, s[10:11]
	v_max_i32_e32 v14, v2, v3
	v_mov_b32_e32 v2, 0
	v_mov_b32_e32 v4, 0
	;; [unrolled: 1-line block ×6, first 2 shown]
	v_cmp_gt_i32_e64 s[10:11], s21, v14
	s_and_saveexec_b64 s[28:29], s[10:11]
	s_cbranch_execz .LBB62_17
; %bb.8:                                ;   in Loop: Header=BB62_7 Depth=2
                                        ; implicit-def: $vgpr6_vgpr7
	s_and_saveexec_b64 s[10:11], s[8:9]
	s_xor_b64 s[10:11], exec, s[10:11]
	s_cbranch_execz .LBB62_14
; %bb.9:                                ;   in Loop: Header=BB62_7 Depth=2
	v_cmp_ne_u32_e64 s[8:9], v13, v8
                                        ; implicit-def: $vgpr6_vgpr7
	s_and_saveexec_b64 s[30:31], s[8:9]
	s_xor_b64 s[30:31], exec, s[30:31]
	s_cbranch_execz .LBB62_11
; %bb.10:                               ;   in Loop: Header=BB62_7 Depth=2
	v_ashrrev_i32_e32 v6, 31, v13
	v_mul_lo_u32 v7, s17, v13
	v_mad_u64_u32 v[4:5], s[8:9], s16, v13, 0
	v_mul_lo_u32 v6, s16, v6
	v_add3_u32 v5, v5, v6, v7
	v_lshlrev_b64 v[4:5], 4, v[4:5]
	v_add_co_u32_e64 v4, s[8:9], v15, v4
	v_addc_co_u32_e64 v5, s[8:9], v16, v5, s[8:9]
	flat_load_dwordx4 v[4:7], v[4:5]
.LBB62_11:                              ;   in Loop: Header=BB62_7 Depth=2
	s_andn2_saveexec_b64 s[8:9], s[30:31]
	s_cbranch_execz .LBB62_13
; %bb.12:                               ;   in Loop: Header=BB62_7 Depth=2
	s_waitcnt vmcnt(0) lgkmcnt(0)
	flat_load_dwordx2 v[4:5], v[9:10]
	v_mov_b32_e32 v6, 0
	v_mov_b32_e32 v7, 0
.LBB62_13:                              ;   in Loop: Header=BB62_7 Depth=2
	s_or_b64 exec, exec, s[8:9]
                                        ; implicit-def: $vgpr13
.LBB62_14:                              ;   in Loop: Header=BB62_7 Depth=2
	s_andn2_saveexec_b64 s[10:11], s[10:11]
	s_cbranch_execz .LBB62_16
; %bb.15:                               ;   in Loop: Header=BB62_7 Depth=2
	v_ashrrev_i32_e32 v14, 31, v13
	s_waitcnt vmcnt(0) lgkmcnt(0)
	v_lshlrev_b64 v[4:5], 4, v[13:14]
	v_add_co_u32_e64 v4, s[8:9], v17, v4
	v_addc_co_u32_e64 v5, s[8:9], v18, v5, s[8:9]
	flat_load_dwordx4 v[4:7], v[4:5]
	s_waitcnt vmcnt(0) lgkmcnt(0)
	v_xor_b32_e32 v7, 0x80000000, v7
.LBB62_16:                              ;   in Loop: Header=BB62_7 Depth=2
	s_or_b64 exec, exec, s[10:11]
.LBB62_17:                              ;   in Loop: Header=BB62_7 Depth=2
	s_or_b64 exec, exec, s[28:29]
	s_waitcnt vmcnt(0) lgkmcnt(0)
	ds_write_b128 v20, v[4:7]
	v_add_u32_e32 v6, s20, v0
	v_cmp_gt_i32_e64 s[8:9], s21, v6
	v_mov_b32_e32 v4, 0
	v_mov_b32_e32 v5, 0
	s_and_b64 s[8:9], s[8:9], vcc
	s_and_saveexec_b64 s[10:11], s[8:9]
	s_cbranch_execz .LBB62_19
; %bb.18:                               ;   in Loop: Header=BB62_7 Depth=2
	v_ashrrev_i32_e32 v7, 31, v6
	v_lshlrev_b64 v[2:3], 4, v[6:7]
	v_add_co_u32_e64 v2, s[8:9], v25, v2
	v_addc_co_u32_e64 v3, s[8:9], v26, v3, s[8:9]
	flat_load_dwordx4 v[2:5], v[2:3]
.LBB62_19:                              ;   in Loop: Header=BB62_7 Depth=2
	s_or_b64 exec, exec, s[10:11]
	s_waitcnt vmcnt(0) lgkmcnt(0)
	ds_write_b128 v22, v[2:5]
	s_waitcnt lgkmcnt(0)
	s_barrier
	s_and_saveexec_b64 s[8:9], s[26:27]
	s_cbranch_execz .LBB62_6
; %bb.20:                               ;   in Loop: Header=BB62_7 Depth=2
	ds_read_b128 v[27:30], v21
	ds_read_b128 v[31:34], v19
	ds_read_b128 v[35:38], v19 offset:16
	ds_read_b128 v[39:42], v19 offset:32
	;; [unrolled: 1-line block ×3, first 2 shown]
	s_waitcnt lgkmcnt(3)
	v_mul_f64 v[6:7], v[29:30], v[33:34]
	v_mul_f64 v[13:14], v[27:28], v[33:34]
	v_fma_f64 v[6:7], v[27:28], v[31:32], -v[6:7]
	v_fma_f64 v[13:14], v[29:30], v[31:32], v[13:14]
	ds_read_b128 v[27:30], v21 offset:512
	s_waitcnt lgkmcnt(0)
	v_mul_f64 v[31:32], v[29:30], v[37:38]
	v_add_f64 v[6:7], v[6:7], 0
	v_add_f64 v[13:14], v[13:14], 0
	v_fma_f64 v[31:32], v[27:28], v[35:36], -v[31:32]
	v_mul_f64 v[27:28], v[27:28], v[37:38]
	v_add_f64 v[6:7], v[6:7], v[31:32]
	v_fma_f64 v[27:28], v[29:30], v[35:36], v[27:28]
	v_add_f64 v[13:14], v[13:14], v[27:28]
	ds_read_b128 v[27:30], v21 offset:1024
	s_waitcnt lgkmcnt(0)
	v_mul_f64 v[31:32], v[29:30], v[41:42]
	v_fma_f64 v[31:32], v[27:28], v[39:40], -v[31:32]
	v_mul_f64 v[27:28], v[27:28], v[41:42]
	v_add_f64 v[6:7], v[6:7], v[31:32]
	v_fma_f64 v[27:28], v[29:30], v[39:40], v[27:28]
	v_add_f64 v[13:14], v[13:14], v[27:28]
	ds_read_b128 v[27:30], v21 offset:1536
	s_waitcnt lgkmcnt(0)
	v_mul_f64 v[31:32], v[29:30], v[4:5]
	v_mul_f64 v[4:5], v[27:28], v[4:5]
	v_fma_f64 v[31:32], v[27:28], v[2:3], -v[31:32]
	v_fma_f64 v[2:3], v[29:30], v[2:3], v[4:5]
	v_add_f64 v[6:7], v[6:7], v[31:32]
	v_add_f64 v[13:14], v[13:14], v[2:3]
	ds_read_b128 v[2:5], v21 offset:2048
	ds_read_b128 v[27:30], v19 offset:64
	s_waitcnt lgkmcnt(0)
	v_mul_f64 v[31:32], v[4:5], v[29:30]
	v_fma_f64 v[31:32], v[2:3], v[27:28], -v[31:32]
	v_mul_f64 v[2:3], v[2:3], v[29:30]
	v_add_f64 v[6:7], v[6:7], v[31:32]
	v_fma_f64 v[2:3], v[4:5], v[27:28], v[2:3]
	v_add_f64 v[13:14], v[13:14], v[2:3]
	ds_read_b128 v[2:5], v21 offset:2560
	ds_read_b128 v[27:30], v19 offset:80
	s_waitcnt lgkmcnt(0)
	v_mul_f64 v[31:32], v[4:5], v[29:30]
	v_fma_f64 v[31:32], v[2:3], v[27:28], -v[31:32]
	v_mul_f64 v[2:3], v[2:3], v[29:30]
	v_add_f64 v[6:7], v[6:7], v[31:32]
	v_fma_f64 v[2:3], v[4:5], v[27:28], v[2:3]
	;; [unrolled: 9-line block ×27, first 2 shown]
	v_add_f64 v[13:14], v[13:14], v[2:3]
	ds_read_b128 v[2:5], v21 offset:15872
	ds_read_b128 v[27:30], v19 offset:496
	s_waitcnt lgkmcnt(0)
	v_mul_f64 v[31:32], v[4:5], v[29:30]
	v_fma_f64 v[31:32], v[2:3], v[27:28], -v[31:32]
	v_mul_f64 v[2:3], v[2:3], v[29:30]
	v_fma_f64 v[2:3], v[4:5], v[27:28], v[2:3]
	flat_load_dwordx4 v[27:30], v[11:12]
	v_add_f64 v[4:5], v[6:7], v[31:32]
	v_add_f64 v[6:7], v[13:14], v[2:3]
	v_mul_f64 v[2:3], s[14:15], v[6:7]
	v_fma_f64 v[2:3], s[12:13], v[4:5], -v[2:3]
	v_mul_f64 v[4:5], s[14:15], v[4:5]
	v_fma_f64 v[4:5], s[12:13], v[6:7], v[4:5]
	s_waitcnt vmcnt(0) lgkmcnt(0)
	v_add_f64 v[2:3], v[27:28], v[2:3]
	v_add_f64 v[4:5], v[29:30], v[4:5]
	flat_store_dwordx4 v[11:12], v[2:5]
	s_branch .LBB62_6
.LBB62_21:
	s_endpgm
	.section	.rodata,"a",@progbits
	.p2align	6, 0x0
	.amdhsa_kernel _ZL24rocblas_symm_hemm_kernelILb1ELb0ELi32E19rocblas_complex_numIdEPKPKS1_PKPS1_EvbiiT2_T3_lllSA_lllT4_llli
		.amdhsa_group_segment_fixed_size 32768
		.amdhsa_private_segment_fixed_size 0
		.amdhsa_kernarg_size 392
		.amdhsa_user_sgpr_count 6
		.amdhsa_user_sgpr_private_segment_buffer 1
		.amdhsa_user_sgpr_dispatch_ptr 0
		.amdhsa_user_sgpr_queue_ptr 0
		.amdhsa_user_sgpr_kernarg_segment_ptr 1
		.amdhsa_user_sgpr_dispatch_id 0
		.amdhsa_user_sgpr_flat_scratch_init 0
		.amdhsa_user_sgpr_private_segment_size 0
		.amdhsa_uses_dynamic_stack 0
		.amdhsa_system_sgpr_private_segment_wavefront_offset 0
		.amdhsa_system_sgpr_workgroup_id_x 1
		.amdhsa_system_sgpr_workgroup_id_y 1
		.amdhsa_system_sgpr_workgroup_id_z 1
		.amdhsa_system_sgpr_workgroup_info 0
		.amdhsa_system_vgpr_workitem_id 1
		.amdhsa_next_free_vgpr 43
		.amdhsa_next_free_sgpr 61
		.amdhsa_reserve_vcc 1
		.amdhsa_reserve_flat_scratch 0
		.amdhsa_float_round_mode_32 0
		.amdhsa_float_round_mode_16_64 0
		.amdhsa_float_denorm_mode_32 3
		.amdhsa_float_denorm_mode_16_64 3
		.amdhsa_dx10_clamp 1
		.amdhsa_ieee_mode 1
		.amdhsa_fp16_overflow 0
		.amdhsa_exception_fp_ieee_invalid_op 0
		.amdhsa_exception_fp_denorm_src 0
		.amdhsa_exception_fp_ieee_div_zero 0
		.amdhsa_exception_fp_ieee_overflow 0
		.amdhsa_exception_fp_ieee_underflow 0
		.amdhsa_exception_fp_ieee_inexact 0
		.amdhsa_exception_int_div_zero 0
	.end_amdhsa_kernel
	.section	.text._ZL24rocblas_symm_hemm_kernelILb1ELb0ELi32E19rocblas_complex_numIdEPKPKS1_PKPS1_EvbiiT2_T3_lllSA_lllT4_llli,"axG",@progbits,_ZL24rocblas_symm_hemm_kernelILb1ELb0ELi32E19rocblas_complex_numIdEPKPKS1_PKPS1_EvbiiT2_T3_lllSA_lllT4_llli,comdat
.Lfunc_end62:
	.size	_ZL24rocblas_symm_hemm_kernelILb1ELb0ELi32E19rocblas_complex_numIdEPKPKS1_PKPS1_EvbiiT2_T3_lllSA_lllT4_llli, .Lfunc_end62-_ZL24rocblas_symm_hemm_kernelILb1ELb0ELi32E19rocblas_complex_numIdEPKPKS1_PKPS1_EvbiiT2_T3_lllSA_lllT4_llli
                                        ; -- End function
	.set _ZL24rocblas_symm_hemm_kernelILb1ELb0ELi32E19rocblas_complex_numIdEPKPKS1_PKPS1_EvbiiT2_T3_lllSA_lllT4_llli.num_vgpr, 43
	.set _ZL24rocblas_symm_hemm_kernelILb1ELb0ELi32E19rocblas_complex_numIdEPKPKS1_PKPS1_EvbiiT2_T3_lllSA_lllT4_llli.num_agpr, 0
	.set _ZL24rocblas_symm_hemm_kernelILb1ELb0ELi32E19rocblas_complex_numIdEPKPKS1_PKPS1_EvbiiT2_T3_lllSA_lllT4_llli.numbered_sgpr, 35
	.set _ZL24rocblas_symm_hemm_kernelILb1ELb0ELi32E19rocblas_complex_numIdEPKPKS1_PKPS1_EvbiiT2_T3_lllSA_lllT4_llli.num_named_barrier, 0
	.set _ZL24rocblas_symm_hemm_kernelILb1ELb0ELi32E19rocblas_complex_numIdEPKPKS1_PKPS1_EvbiiT2_T3_lllSA_lllT4_llli.private_seg_size, 0
	.set _ZL24rocblas_symm_hemm_kernelILb1ELb0ELi32E19rocblas_complex_numIdEPKPKS1_PKPS1_EvbiiT2_T3_lllSA_lllT4_llli.uses_vcc, 1
	.set _ZL24rocblas_symm_hemm_kernelILb1ELb0ELi32E19rocblas_complex_numIdEPKPKS1_PKPS1_EvbiiT2_T3_lllSA_lllT4_llli.uses_flat_scratch, 0
	.set _ZL24rocblas_symm_hemm_kernelILb1ELb0ELi32E19rocblas_complex_numIdEPKPKS1_PKPS1_EvbiiT2_T3_lllSA_lllT4_llli.has_dyn_sized_stack, 0
	.set _ZL24rocblas_symm_hemm_kernelILb1ELb0ELi32E19rocblas_complex_numIdEPKPKS1_PKPS1_EvbiiT2_T3_lllSA_lllT4_llli.has_recursion, 0
	.set _ZL24rocblas_symm_hemm_kernelILb1ELb0ELi32E19rocblas_complex_numIdEPKPKS1_PKPS1_EvbiiT2_T3_lllSA_lllT4_llli.has_indirect_call, 0
	.section	.AMDGPU.csdata,"",@progbits
; Kernel info:
; codeLenInByte = 3256
; TotalNumSgprs: 39
; NumVgprs: 43
; ScratchSize: 0
; MemoryBound: 1
; FloatMode: 240
; IeeeMode: 1
; LDSByteSize: 32768 bytes/workgroup (compile time only)
; SGPRBlocks: 8
; VGPRBlocks: 10
; NumSGPRsForWavesPerEU: 65
; NumVGPRsForWavesPerEU: 43
; Occupancy: 5
; WaveLimiterHint : 1
; COMPUTE_PGM_RSRC2:SCRATCH_EN: 0
; COMPUTE_PGM_RSRC2:USER_SGPR: 6
; COMPUTE_PGM_RSRC2:TRAP_HANDLER: 0
; COMPUTE_PGM_RSRC2:TGID_X_EN: 1
; COMPUTE_PGM_RSRC2:TGID_Y_EN: 1
; COMPUTE_PGM_RSRC2:TGID_Z_EN: 1
; COMPUTE_PGM_RSRC2:TIDIG_COMP_CNT: 1
	.section	.text._ZL24rocblas_symm_hemm_kernelILb1ELb1ELi32E19rocblas_complex_numIdEPKPKS1_PKPS1_EvbiiT2_T3_lllSA_lllT4_llli,"axG",@progbits,_ZL24rocblas_symm_hemm_kernelILb1ELb1ELi32E19rocblas_complex_numIdEPKPKS1_PKPS1_EvbiiT2_T3_lllSA_lllT4_llli,comdat
	.globl	_ZL24rocblas_symm_hemm_kernelILb1ELb1ELi32E19rocblas_complex_numIdEPKPKS1_PKPS1_EvbiiT2_T3_lllSA_lllT4_llli ; -- Begin function _ZL24rocblas_symm_hemm_kernelILb1ELb1ELi32E19rocblas_complex_numIdEPKPKS1_PKPS1_EvbiiT2_T3_lllSA_lllT4_llli
	.p2align	8
	.type	_ZL24rocblas_symm_hemm_kernelILb1ELb1ELi32E19rocblas_complex_numIdEPKPKS1_PKPS1_EvbiiT2_T3_lllSA_lllT4_llli,@function
_ZL24rocblas_symm_hemm_kernelILb1ELb1ELi32E19rocblas_complex_numIdEPKPKS1_PKPS1_EvbiiT2_T3_lllSA_lllT4_llli: ; @_ZL24rocblas_symm_hemm_kernelILb1ELb1ELi32E19rocblas_complex_numIdEPKPKS1_PKPS1_EvbiiT2_T3_lllSA_lllT4_llli
; %bb.0:
	s_load_dwordx8 s[12:19], s[4:5], 0x10
	s_waitcnt lgkmcnt(0)
	v_cmp_eq_f64_e64 s[0:1], s[12:13], 0
	v_cmp_eq_f64_e64 s[2:3], s[14:15], 0
	s_and_b64 s[0:1], s[0:1], s[2:3]
	s_and_b64 vcc, exec, s[0:1]
	s_cbranch_vccnz .LBB63_21
; %bb.1:
	s_load_dwordx4 s[20:23], s[4:5], 0x0
	s_waitcnt lgkmcnt(0)
	s_add_i32 s0, s22, -1
	s_ashr_i32 s1, s0, 31
	s_lshr_b32 s1, s1, 27
	s_add_i32 s0, s0, s1
	s_ashr_i32 s23, s0, 5
	s_cmp_gt_i32 s7, s23
	s_cbranch_scc1 .LBB63_21
; %bb.2:
	s_mov_b32 s9, 0
	s_lshl_b64 s[8:9], s[8:9], 3
	s_add_u32 s28, s16, s8
	s_addc_u32 s29, s17, s9
	s_load_dwordx2 s[30:31], s[28:29], 0x0
	s_load_dwordx2 s[10:11], s[4:5], 0x30
	s_load_dwordx4 s[0:3], s[4:5], 0x40
	s_load_dwordx2 s[16:17], s[4:5], 0x50
	s_load_dwordx4 s[24:27], s[4:5], 0x60
	s_lshl_b64 s[18:19], s[18:19], 4
	s_waitcnt lgkmcnt(0)
	s_add_u32 s28, s30, s18
	s_addc_u32 s29, s31, s19
	s_add_u32 s0, s0, s8
	s_addc_u32 s1, s1, s9
	;; [unrolled: 2-line block ×3, first 2 shown]
	s_load_dwordx2 s[18:19], s[8:9], 0x0
	s_load_dwordx2 s[24:25], s[0:1], 0x0
	s_bitcmp1_b32 s20, 0
	s_cselect_b64 s[0:1], -1, 0
	s_lshl_b64 s[8:9], s[26:27], 4
	s_waitcnt lgkmcnt(0)
	s_add_u32 s20, s18, s8
	s_addc_u32 s18, s19, s9
	s_lshl_b64 s[2:3], s[2:3], 4
	v_lshl_add_u32 v2, s6, 5, v0
	s_add_u32 s19, s24, s2
	v_ashrrev_i32_e32 v3, 31, v2
	s_addc_u32 s24, s25, s3
	v_cmp_gt_i32_e64 s[2:3], s21, v2
	v_lshlrev_b64 v[2:3], 4, v[2:3]
	v_mov_b32_e32 v4, s24
	v_add_co_u32_e32 v13, vcc, s19, v2
	v_addc_co_u32_e32 v14, vcc, v4, v3, vcc
	v_lshlrev_b32_e32 v15, 9, v0
	v_lshlrev_b32_e32 v4, 4, v1
	v_add_u32_e32 v16, v15, v4
	v_or_b32_e32 v17, 0x4000, v4
	v_mov_b32_e32 v4, s18
	s_load_dwordx2 s[18:19], s[4:5], 0x70
	s_load_dword s6, s[4:5], 0x8c
	s_cmp_gt_i32 s22, 0
	s_cselect_b64 s[8:9], -1, 0
	v_add_co_u32_e32 v19, vcc, s20, v2
	v_lshl_add_u32 v2, s7, 5, v1
	v_sub_u32_e32 v21, 0, v2
	v_cndmask_b32_e64 v2, 0, 1, s[8:9]
	v_add_u32_e32 v18, v17, v15
	v_addc_co_u32_e32 v20, vcc, v4, v3, vcc
	s_waitcnt lgkmcnt(0)
	s_lshl_b32 s30, s6, 5
	v_cmp_ne_u32_e64 s[4:5], 1, v2
	s_branch .LBB63_4
.LBB63_3:                               ;   in Loop: Header=BB63_4 Depth=1
	s_add_i32 s7, s7, s6
	s_cmp_gt_i32 s7, s23
	v_subrev_u32_e32 v21, s30, v21
	s_cbranch_scc1 .LBB63_21
.LBB63_4:                               ; =>This Loop Header: Depth=1
                                        ;     Child Loop BB63_7 Depth 2
	s_and_b64 vcc, exec, s[4:5]
	s_cbranch_vccnz .LBB63_3
; %bb.5:                                ;   in Loop: Header=BB63_4 Depth=1
	v_lshl_add_u32 v8, s7, 5, v1
	v_ashrrev_i32_e32 v9, 31, v8
	v_mul_lo_u32 v4, s11, v8
	v_mad_u64_u32 v[2:3], s[8:9], s10, v8, 0
	v_mul_lo_u32 v5, s10, v9
	v_mul_lo_u32 v7, s18, v9
	v_mov_b32_e32 v6, s29
	v_add_u32_e32 v26, v0, v21
	v_add3_u32 v3, v3, v5, v4
	v_lshlrev_b64 v[2:3], 4, v[2:3]
	v_mov_b32_e32 v4, s29
	v_add_co_u32_e32 v22, vcc, s28, v2
	v_addc_co_u32_e32 v23, vcc, v4, v3, vcc
	v_lshlrev_b64 v[2:3], 4, v[8:9]
	v_mul_lo_u32 v9, s19, v8
	v_mad_u64_u32 v[4:5], s[8:9], s18, v8, 0
	v_add_co_u32_e32 v24, vcc, s28, v2
	v_add3_u32 v5, v5, v7, v9
	v_addc_co_u32_e32 v25, vcc, v6, v3, vcc
	v_lshlrev_b64 v[4:5], 4, v[4:5]
	v_cmp_gt_i32_e32 vcc, s22, v8
	s_and_b64 s[20:21], s[2:3], vcc
	v_add_co_u32_e32 v9, vcc, v19, v4
	v_addc_co_u32_e32 v10, vcc, v20, v5, vcc
	v_add_co_u32_e32 v11, vcc, v22, v2
	v_addc_co_u32_e32 v12, vcc, v23, v3, vcc
	s_mov_b32 s31, 0
	s_branch .LBB63_7
.LBB63_6:                               ;   in Loop: Header=BB63_7 Depth=2
	s_or_b64 exec, exec, s[8:9]
	s_add_i32 s31, s31, 32
	s_cmp_ge_i32 s31, s22
	s_waitcnt vmcnt(0) lgkmcnt(0)
	s_barrier
	s_cbranch_scc1 .LBB63_3
.LBB63_7:                               ;   Parent Loop BB63_4 Depth=1
                                        ; =>  This Inner Loop Header: Depth=2
	v_add_u32_e32 v27, s31, v1
	v_cmp_gt_i32_e32 vcc, s22, v27
	v_mov_b32_e32 v2, 0
	v_mov_b32_e32 v4, 0
	;; [unrolled: 1-line block ×6, first 2 shown]
	s_and_b64 s[24:25], s[2:3], vcc
	s_and_saveexec_b64 s[8:9], s[24:25]
	s_cbranch_execz .LBB63_9
; %bb.8:                                ;   in Loop: Header=BB63_7 Depth=2
	v_ashrrev_i32_e32 v6, 31, v27
	v_mul_lo_u32 v7, s17, v27
	v_mad_u64_u32 v[4:5], s[24:25], s16, v27, 0
	v_mul_lo_u32 v6, s16, v6
	v_add3_u32 v5, v5, v6, v7
	v_lshlrev_b64 v[4:5], 4, v[4:5]
	v_add_co_u32_e32 v4, vcc, v13, v4
	v_addc_co_u32_e32 v5, vcc, v14, v5, vcc
	flat_load_dwordx4 v[4:7], v[4:5]
.LBB63_9:                               ;   in Loop: Header=BB63_7 Depth=2
	s_or_b64 exec, exec, s[8:9]
	s_waitcnt vmcnt(0) lgkmcnt(0)
	ds_write_b128 v16, v[4:7]
	v_add_u32_e32 v6, s31, v0
	v_cndmask_b32_e64 v4, v8, v6, s[0:1]
	v_cndmask_b32_e64 v5, v6, v8, s[0:1]
	v_cmp_gt_i32_e64 s[8:9], v4, v5
	v_cmp_le_i32_e32 vcc, v4, v5
	v_cndmask_b32_e64 v4, v6, v8, s[8:9]
	v_cndmask_b32_e64 v5, v8, v6, s[8:9]
	v_max_i32_e32 v7, v4, v5
	v_mov_b32_e32 v4, 0
	v_mov_b32_e32 v5, 0
	v_cmp_gt_i32_e64 s[8:9], s22, v7
	s_and_saveexec_b64 s[24:25], s[8:9]
	s_cbranch_execz .LBB63_19
; %bb.10:                               ;   in Loop: Header=BB63_7 Depth=2
                                        ; implicit-def: $vgpr4_vgpr5
	s_and_saveexec_b64 s[8:9], vcc
	s_xor_b64 s[8:9], exec, s[8:9]
	s_cbranch_execz .LBB63_16
; %bb.11:                               ;   in Loop: Header=BB63_7 Depth=2
	v_add_u32_e32 v2, s31, v26
	v_cmp_ne_u32_e32 vcc, 0, v2
                                        ; implicit-def: $vgpr4_vgpr5
	s_and_saveexec_b64 s[26:27], vcc
	s_xor_b64 s[26:27], exec, s[26:27]
	s_cbranch_execz .LBB63_13
; %bb.12:                               ;   in Loop: Header=BB63_7 Depth=2
	v_ashrrev_i32_e32 v7, 31, v6
	v_lshlrev_b64 v[2:3], 4, v[6:7]
	v_add_co_u32_e32 v2, vcc, v22, v2
	v_addc_co_u32_e32 v3, vcc, v23, v3, vcc
	flat_load_dwordx4 v[2:5], v[2:3]
.LBB63_13:                              ;   in Loop: Header=BB63_7 Depth=2
	s_andn2_saveexec_b64 s[26:27], s[26:27]
	s_cbranch_execz .LBB63_15
; %bb.14:                               ;   in Loop: Header=BB63_7 Depth=2
	s_waitcnt vmcnt(0) lgkmcnt(0)
	flat_load_dwordx2 v[2:3], v[11:12]
	v_mov_b32_e32 v4, 0
	v_mov_b32_e32 v5, 0
.LBB63_15:                              ;   in Loop: Header=BB63_7 Depth=2
	s_or_b64 exec, exec, s[26:27]
                                        ; implicit-def: $vgpr6
.LBB63_16:                              ;   in Loop: Header=BB63_7 Depth=2
	s_andn2_saveexec_b64 s[8:9], s[8:9]
	s_cbranch_execz .LBB63_18
; %bb.17:                               ;   in Loop: Header=BB63_7 Depth=2
	s_waitcnt vmcnt(0) lgkmcnt(0)
	v_ashrrev_i32_e32 v4, 31, v6
	v_mul_lo_u32 v5, s11, v6
	v_mad_u64_u32 v[2:3], s[26:27], s10, v6, 0
	v_mul_lo_u32 v4, s10, v4
	v_add3_u32 v3, v3, v4, v5
	v_lshlrev_b64 v[2:3], 4, v[2:3]
	v_add_co_u32_e32 v2, vcc, v24, v2
	v_addc_co_u32_e32 v3, vcc, v25, v3, vcc
	flat_load_dwordx4 v[2:5], v[2:3]
	s_waitcnt vmcnt(0) lgkmcnt(0)
	v_xor_b32_e32 v5, 0x80000000, v5
.LBB63_18:                              ;   in Loop: Header=BB63_7 Depth=2
	s_or_b64 exec, exec, s[8:9]
.LBB63_19:                              ;   in Loop: Header=BB63_7 Depth=2
	s_or_b64 exec, exec, s[24:25]
	s_waitcnt vmcnt(0) lgkmcnt(0)
	ds_write_b128 v18, v[2:5]
	s_waitcnt lgkmcnt(0)
	s_barrier
	s_and_saveexec_b64 s[8:9], s[20:21]
	s_cbranch_execz .LBB63_6
; %bb.20:                               ;   in Loop: Header=BB63_7 Depth=2
	ds_read_b128 v[27:30], v17
	ds_read_b128 v[31:34], v15
	ds_read_b128 v[35:38], v15 offset:16
	ds_read_b128 v[39:42], v15 offset:32
	;; [unrolled: 1-line block ×3, first 2 shown]
	s_waitcnt lgkmcnt(3)
	v_mul_f64 v[6:7], v[29:30], v[33:34]
	v_fma_f64 v[6:7], v[27:28], v[31:32], -v[6:7]
	v_mul_f64 v[27:28], v[27:28], v[33:34]
	v_add_f64 v[6:7], v[6:7], 0
	v_fma_f64 v[27:28], v[29:30], v[31:32], v[27:28]
	v_add_f64 v[31:32], v[27:28], 0
	ds_read_b128 v[27:30], v17 offset:512
	s_waitcnt lgkmcnt(0)
	v_mul_f64 v[33:34], v[29:30], v[37:38]
	v_fma_f64 v[33:34], v[27:28], v[35:36], -v[33:34]
	v_mul_f64 v[27:28], v[27:28], v[37:38]
	v_add_f64 v[6:7], v[6:7], v[33:34]
	v_fma_f64 v[27:28], v[29:30], v[35:36], v[27:28]
	v_add_f64 v[31:32], v[31:32], v[27:28]
	ds_read_b128 v[27:30], v17 offset:1024
	;; [unrolled: 8-line block ×3, first 2 shown]
	s_waitcnt lgkmcnt(0)
	v_mul_f64 v[33:34], v[29:30], v[4:5]
	v_mul_f64 v[4:5], v[27:28], v[4:5]
	v_fma_f64 v[33:34], v[27:28], v[2:3], -v[33:34]
	v_fma_f64 v[2:3], v[29:30], v[2:3], v[4:5]
	v_add_f64 v[6:7], v[6:7], v[33:34]
	v_add_f64 v[31:32], v[31:32], v[2:3]
	ds_read_b128 v[2:5], v17 offset:2048
	ds_read_b128 v[27:30], v15 offset:64
	s_waitcnt lgkmcnt(0)
	v_mul_f64 v[33:34], v[4:5], v[29:30]
	v_fma_f64 v[33:34], v[2:3], v[27:28], -v[33:34]
	v_mul_f64 v[2:3], v[2:3], v[29:30]
	v_add_f64 v[6:7], v[6:7], v[33:34]
	v_fma_f64 v[2:3], v[4:5], v[27:28], v[2:3]
	v_add_f64 v[31:32], v[31:32], v[2:3]
	ds_read_b128 v[2:5], v17 offset:2560
	ds_read_b128 v[27:30], v15 offset:80
	s_waitcnt lgkmcnt(0)
	v_mul_f64 v[33:34], v[4:5], v[29:30]
	v_fma_f64 v[33:34], v[2:3], v[27:28], -v[33:34]
	v_mul_f64 v[2:3], v[2:3], v[29:30]
	v_add_f64 v[6:7], v[6:7], v[33:34]
	v_fma_f64 v[2:3], v[4:5], v[27:28], v[2:3]
	;; [unrolled: 9-line block ×27, first 2 shown]
	v_add_f64 v[31:32], v[31:32], v[2:3]
	ds_read_b128 v[2:5], v17 offset:15872
	ds_read_b128 v[27:30], v15 offset:496
	s_waitcnt lgkmcnt(0)
	v_mul_f64 v[33:34], v[4:5], v[29:30]
	v_fma_f64 v[33:34], v[2:3], v[27:28], -v[33:34]
	v_mul_f64 v[2:3], v[2:3], v[29:30]
	v_fma_f64 v[2:3], v[4:5], v[27:28], v[2:3]
	flat_load_dwordx4 v[27:30], v[9:10]
	v_add_f64 v[4:5], v[6:7], v[33:34]
	v_add_f64 v[6:7], v[31:32], v[2:3]
	v_mul_f64 v[2:3], s[14:15], v[6:7]
	v_fma_f64 v[2:3], s[12:13], v[4:5], -v[2:3]
	v_mul_f64 v[4:5], s[14:15], v[4:5]
	v_fma_f64 v[4:5], s[12:13], v[6:7], v[4:5]
	s_waitcnt vmcnt(0) lgkmcnt(0)
	v_add_f64 v[2:3], v[27:28], v[2:3]
	v_add_f64 v[4:5], v[29:30], v[4:5]
	flat_store_dwordx4 v[9:10], v[2:5]
	s_branch .LBB63_6
.LBB63_21:
	s_endpgm
	.section	.rodata,"a",@progbits
	.p2align	6, 0x0
	.amdhsa_kernel _ZL24rocblas_symm_hemm_kernelILb1ELb1ELi32E19rocblas_complex_numIdEPKPKS1_PKPS1_EvbiiT2_T3_lllSA_lllT4_llli
		.amdhsa_group_segment_fixed_size 32768
		.amdhsa_private_segment_fixed_size 0
		.amdhsa_kernarg_size 392
		.amdhsa_user_sgpr_count 6
		.amdhsa_user_sgpr_private_segment_buffer 1
		.amdhsa_user_sgpr_dispatch_ptr 0
		.amdhsa_user_sgpr_queue_ptr 0
		.amdhsa_user_sgpr_kernarg_segment_ptr 1
		.amdhsa_user_sgpr_dispatch_id 0
		.amdhsa_user_sgpr_flat_scratch_init 0
		.amdhsa_user_sgpr_private_segment_size 0
		.amdhsa_uses_dynamic_stack 0
		.amdhsa_system_sgpr_private_segment_wavefront_offset 0
		.amdhsa_system_sgpr_workgroup_id_x 1
		.amdhsa_system_sgpr_workgroup_id_y 1
		.amdhsa_system_sgpr_workgroup_id_z 1
		.amdhsa_system_sgpr_workgroup_info 0
		.amdhsa_system_vgpr_workitem_id 1
		.amdhsa_next_free_vgpr 43
		.amdhsa_next_free_sgpr 61
		.amdhsa_reserve_vcc 1
		.amdhsa_reserve_flat_scratch 0
		.amdhsa_float_round_mode_32 0
		.amdhsa_float_round_mode_16_64 0
		.amdhsa_float_denorm_mode_32 3
		.amdhsa_float_denorm_mode_16_64 3
		.amdhsa_dx10_clamp 1
		.amdhsa_ieee_mode 1
		.amdhsa_fp16_overflow 0
		.amdhsa_exception_fp_ieee_invalid_op 0
		.amdhsa_exception_fp_denorm_src 0
		.amdhsa_exception_fp_ieee_div_zero 0
		.amdhsa_exception_fp_ieee_overflow 0
		.amdhsa_exception_fp_ieee_underflow 0
		.amdhsa_exception_fp_ieee_inexact 0
		.amdhsa_exception_int_div_zero 0
	.end_amdhsa_kernel
	.section	.text._ZL24rocblas_symm_hemm_kernelILb1ELb1ELi32E19rocblas_complex_numIdEPKPKS1_PKPS1_EvbiiT2_T3_lllSA_lllT4_llli,"axG",@progbits,_ZL24rocblas_symm_hemm_kernelILb1ELb1ELi32E19rocblas_complex_numIdEPKPKS1_PKPS1_EvbiiT2_T3_lllSA_lllT4_llli,comdat
.Lfunc_end63:
	.size	_ZL24rocblas_symm_hemm_kernelILb1ELb1ELi32E19rocblas_complex_numIdEPKPKS1_PKPS1_EvbiiT2_T3_lllSA_lllT4_llli, .Lfunc_end63-_ZL24rocblas_symm_hemm_kernelILb1ELb1ELi32E19rocblas_complex_numIdEPKPKS1_PKPS1_EvbiiT2_T3_lllSA_lllT4_llli
                                        ; -- End function
	.set _ZL24rocblas_symm_hemm_kernelILb1ELb1ELi32E19rocblas_complex_numIdEPKPKS1_PKPS1_EvbiiT2_T3_lllSA_lllT4_llli.num_vgpr, 43
	.set _ZL24rocblas_symm_hemm_kernelILb1ELb1ELi32E19rocblas_complex_numIdEPKPKS1_PKPS1_EvbiiT2_T3_lllSA_lllT4_llli.num_agpr, 0
	.set _ZL24rocblas_symm_hemm_kernelILb1ELb1ELi32E19rocblas_complex_numIdEPKPKS1_PKPS1_EvbiiT2_T3_lllSA_lllT4_llli.numbered_sgpr, 32
	.set _ZL24rocblas_symm_hemm_kernelILb1ELb1ELi32E19rocblas_complex_numIdEPKPKS1_PKPS1_EvbiiT2_T3_lllSA_lllT4_llli.num_named_barrier, 0
	.set _ZL24rocblas_symm_hemm_kernelILb1ELb1ELi32E19rocblas_complex_numIdEPKPKS1_PKPS1_EvbiiT2_T3_lllSA_lllT4_llli.private_seg_size, 0
	.set _ZL24rocblas_symm_hemm_kernelILb1ELb1ELi32E19rocblas_complex_numIdEPKPKS1_PKPS1_EvbiiT2_T3_lllSA_lllT4_llli.uses_vcc, 1
	.set _ZL24rocblas_symm_hemm_kernelILb1ELb1ELi32E19rocblas_complex_numIdEPKPKS1_PKPS1_EvbiiT2_T3_lllSA_lllT4_llli.uses_flat_scratch, 0
	.set _ZL24rocblas_symm_hemm_kernelILb1ELb1ELi32E19rocblas_complex_numIdEPKPKS1_PKPS1_EvbiiT2_T3_lllSA_lllT4_llli.has_dyn_sized_stack, 0
	.set _ZL24rocblas_symm_hemm_kernelILb1ELb1ELi32E19rocblas_complex_numIdEPKPKS1_PKPS1_EvbiiT2_T3_lllSA_lllT4_llli.has_recursion, 0
	.set _ZL24rocblas_symm_hemm_kernelILb1ELb1ELi32E19rocblas_complex_numIdEPKPKS1_PKPS1_EvbiiT2_T3_lllSA_lllT4_llli.has_indirect_call, 0
	.section	.AMDGPU.csdata,"",@progbits
; Kernel info:
; codeLenInByte = 3228
; TotalNumSgprs: 36
; NumVgprs: 43
; ScratchSize: 0
; MemoryBound: 1
; FloatMode: 240
; IeeeMode: 1
; LDSByteSize: 32768 bytes/workgroup (compile time only)
; SGPRBlocks: 8
; VGPRBlocks: 10
; NumSGPRsForWavesPerEU: 65
; NumVGPRsForWavesPerEU: 43
; Occupancy: 5
; WaveLimiterHint : 1
; COMPUTE_PGM_RSRC2:SCRATCH_EN: 0
; COMPUTE_PGM_RSRC2:USER_SGPR: 6
; COMPUTE_PGM_RSRC2:TRAP_HANDLER: 0
; COMPUTE_PGM_RSRC2:TGID_X_EN: 1
; COMPUTE_PGM_RSRC2:TGID_Y_EN: 1
; COMPUTE_PGM_RSRC2:TGID_Z_EN: 1
; COMPUTE_PGM_RSRC2:TIDIG_COMP_CNT: 1
	.section	.AMDGPU.gpr_maximums,"",@progbits
	.set amdgpu.max_num_vgpr, 0
	.set amdgpu.max_num_agpr, 0
	.set amdgpu.max_num_sgpr, 0
	.section	.AMDGPU.csdata,"",@progbits
	.type	__hip_cuid_1fb72af1f54a223d,@object ; @__hip_cuid_1fb72af1f54a223d
	.section	.bss,"aw",@nobits
	.globl	__hip_cuid_1fb72af1f54a223d
__hip_cuid_1fb72af1f54a223d:
	.byte	0                               ; 0x0
	.size	__hip_cuid_1fb72af1f54a223d, 1

	.ident	"AMD clang version 22.0.0git (https://github.com/RadeonOpenCompute/llvm-project roc-7.2.4 26084 f58b06dce1f9c15707c5f808fd002e18c2accf7e)"
	.section	".note.GNU-stack","",@progbits
	.addrsig
	.addrsig_sym __hip_cuid_1fb72af1f54a223d
	.amdgpu_metadata
---
amdhsa.kernels:
  - .args:
      - .offset:         0
        .size:           4
        .value_kind:     by_value
      - .offset:         4
        .size:           4
        .value_kind:     by_value
      - .address_space:  global
        .offset:         8
        .size:           8
        .value_kind:     global_buffer
      - .address_space:  global
        .offset:         16
        .size:           8
        .value_kind:     global_buffer
      - .offset:         24
        .size:           8
        .value_kind:     by_value
      - .offset:         32
        .size:           8
        .value_kind:     by_value
      - .offset:         40
        .size:           8
        .value_kind:     by_value
      - .offset:         48
        .size:           4
        .value_kind:     by_value
      - .offset:         56
        .size:           4
        .value_kind:     hidden_block_count_x
      - .offset:         60
        .size:           4
        .value_kind:     hidden_block_count_y
      - .offset:         64
        .size:           4
        .value_kind:     hidden_block_count_z
      - .offset:         68
        .size:           2
        .value_kind:     hidden_group_size_x
      - .offset:         70
        .size:           2
        .value_kind:     hidden_group_size_y
      - .offset:         72
        .size:           2
        .value_kind:     hidden_group_size_z
      - .offset:         74
        .size:           2
        .value_kind:     hidden_remainder_x
      - .offset:         76
        .size:           2
        .value_kind:     hidden_remainder_y
      - .offset:         78
        .size:           2
        .value_kind:     hidden_remainder_z
      - .offset:         96
        .size:           8
        .value_kind:     hidden_global_offset_x
      - .offset:         104
        .size:           8
        .value_kind:     hidden_global_offset_y
      - .offset:         112
        .size:           8
        .value_kind:     hidden_global_offset_z
      - .offset:         120
        .size:           2
        .value_kind:     hidden_grid_dims
    .group_segment_fixed_size: 0
    .kernarg_segment_align: 8
    .kernarg_segment_size: 312
    .language:       OpenCL C
    .language_version:
      - 2
      - 0
    .max_flat_workgroup_size: 1024
    .name:           _ZL25rocblas_symm_scale_kernelILi128ELi8EPKfPfEviiT1_T2_llli
    .private_segment_fixed_size: 0
    .sgpr_count:     24
    .sgpr_spill_count: 0
    .symbol:         _ZL25rocblas_symm_scale_kernelILi128ELi8EPKfPfEviiT1_T2_llli.kd
    .uniform_work_group_size: 1
    .uses_dynamic_stack: false
    .vgpr_count:     7
    .vgpr_spill_count: 0
    .wavefront_size: 64
  - .args:
      - .offset:         0
        .size:           1
        .value_kind:     by_value
      - .offset:         4
        .size:           4
        .value_kind:     by_value
      - .offset:         8
        .size:           4
        .value_kind:     by_value
      - .address_space:  global
        .offset:         16
        .size:           8
        .value_kind:     global_buffer
      - .address_space:  global
        .offset:         24
        .size:           8
        .value_kind:     global_buffer
      - .offset:         32
        .size:           8
        .value_kind:     by_value
      - .offset:         40
        .size:           8
        .value_kind:     by_value
      - .offset:         48
        .size:           8
        .value_kind:     by_value
      - .address_space:  global
        .offset:         56
        .size:           8
        .value_kind:     global_buffer
      - .offset:         64
        .size:           8
        .value_kind:     by_value
      - .offset:         72
        .size:           8
        .value_kind:     by_value
      - .offset:         80
        .size:           8
        .value_kind:     by_value
      - .address_space:  global
        .offset:         88
        .size:           8
        .value_kind:     global_buffer
      - .offset:         96
        .size:           8
        .value_kind:     by_value
      - .offset:         104
        .size:           8
        .value_kind:     by_value
      - .offset:         112
        .size:           8
        .value_kind:     by_value
      - .offset:         120
        .size:           4
        .value_kind:     by_value
      - .offset:         128
        .size:           4
        .value_kind:     hidden_block_count_x
      - .offset:         132
        .size:           4
        .value_kind:     hidden_block_count_y
      - .offset:         136
        .size:           4
        .value_kind:     hidden_block_count_z
      - .offset:         140
        .size:           2
        .value_kind:     hidden_group_size_x
      - .offset:         142
        .size:           2
        .value_kind:     hidden_group_size_y
      - .offset:         144
        .size:           2
        .value_kind:     hidden_group_size_z
      - .offset:         146
        .size:           2
        .value_kind:     hidden_remainder_x
      - .offset:         148
        .size:           2
        .value_kind:     hidden_remainder_y
      - .offset:         150
        .size:           2
        .value_kind:     hidden_remainder_z
      - .offset:         168
        .size:           8
        .value_kind:     hidden_global_offset_x
      - .offset:         176
        .size:           8
        .value_kind:     hidden_global_offset_y
      - .offset:         184
        .size:           8
        .value_kind:     hidden_global_offset_z
      - .offset:         192
        .size:           2
        .value_kind:     hidden_grid_dims
    .group_segment_fixed_size: 8192
    .kernarg_segment_align: 8
    .kernarg_segment_size: 384
    .language:       OpenCL C
    .language_version:
      - 2
      - 0
    .max_flat_workgroup_size: 1024
    .name:           _ZL24rocblas_symm_hemm_kernelILb0ELb0ELi32EPKfS1_PfEvbiiT2_T3_lllS4_lllT4_llli
    .private_segment_fixed_size: 0
    .sgpr_count:     48
    .sgpr_spill_count: 0
    .symbol:         _ZL24rocblas_symm_hemm_kernelILb0ELb0ELi32EPKfS1_PfEvbiiT2_T3_lllS4_lllT4_llli.kd
    .uniform_work_group_size: 1
    .uses_dynamic_stack: false
    .vgpr_count:     30
    .vgpr_spill_count: 0
    .wavefront_size: 64
  - .args:
      - .offset:         0
        .size:           1
        .value_kind:     by_value
      - .offset:         4
        .size:           4
        .value_kind:     by_value
      - .offset:         8
        .size:           4
        .value_kind:     by_value
      - .address_space:  global
        .offset:         16
        .size:           8
        .value_kind:     global_buffer
      - .address_space:  global
        .offset:         24
        .size:           8
        .value_kind:     global_buffer
      - .offset:         32
        .size:           8
        .value_kind:     by_value
      - .offset:         40
        .size:           8
        .value_kind:     by_value
      - .offset:         48
        .size:           8
        .value_kind:     by_value
      - .address_space:  global
        .offset:         56
        .size:           8
        .value_kind:     global_buffer
      - .offset:         64
        .size:           8
        .value_kind:     by_value
      - .offset:         72
        .size:           8
        .value_kind:     by_value
      - .offset:         80
        .size:           8
        .value_kind:     by_value
      - .address_space:  global
        .offset:         88
        .size:           8
        .value_kind:     global_buffer
      - .offset:         96
        .size:           8
        .value_kind:     by_value
      - .offset:         104
        .size:           8
        .value_kind:     by_value
      - .offset:         112
        .size:           8
        .value_kind:     by_value
      - .offset:         120
        .size:           4
        .value_kind:     by_value
      - .offset:         128
        .size:           4
        .value_kind:     hidden_block_count_x
      - .offset:         132
        .size:           4
        .value_kind:     hidden_block_count_y
      - .offset:         136
        .size:           4
        .value_kind:     hidden_block_count_z
      - .offset:         140
        .size:           2
        .value_kind:     hidden_group_size_x
      - .offset:         142
        .size:           2
        .value_kind:     hidden_group_size_y
      - .offset:         144
        .size:           2
        .value_kind:     hidden_group_size_z
      - .offset:         146
        .size:           2
        .value_kind:     hidden_remainder_x
      - .offset:         148
        .size:           2
        .value_kind:     hidden_remainder_y
      - .offset:         150
        .size:           2
        .value_kind:     hidden_remainder_z
      - .offset:         168
        .size:           8
        .value_kind:     hidden_global_offset_x
      - .offset:         176
        .size:           8
        .value_kind:     hidden_global_offset_y
      - .offset:         184
        .size:           8
        .value_kind:     hidden_global_offset_z
      - .offset:         192
        .size:           2
        .value_kind:     hidden_grid_dims
    .group_segment_fixed_size: 8192
    .kernarg_segment_align: 8
    .kernarg_segment_size: 384
    .language:       OpenCL C
    .language_version:
      - 2
      - 0
    .max_flat_workgroup_size: 1024
    .name:           _ZL24rocblas_symm_hemm_kernelILb0ELb1ELi32EPKfS1_PfEvbiiT2_T3_lllS4_lllT4_llli
    .private_segment_fixed_size: 0
    .sgpr_count:     48
    .sgpr_spill_count: 0
    .symbol:         _ZL24rocblas_symm_hemm_kernelILb0ELb1ELi32EPKfS1_PfEvbiiT2_T3_lllS4_lllT4_llli.kd
    .uniform_work_group_size: 1
    .uses_dynamic_stack: false
    .vgpr_count:     30
    .vgpr_spill_count: 0
    .wavefront_size: 64
  - .args:
      - .offset:         0
        .size:           4
        .value_kind:     by_value
      - .offset:         4
        .size:           4
        .value_kind:     by_value
      - .offset:         8
        .size:           4
        .value_kind:     by_value
      - .address_space:  global
        .offset:         16
        .size:           8
        .value_kind:     global_buffer
      - .offset:         24
        .size:           8
        .value_kind:     by_value
      - .offset:         32
        .size:           8
        .value_kind:     by_value
      - .offset:         40
        .size:           8
        .value_kind:     by_value
      - .offset:         48
        .size:           4
        .value_kind:     by_value
      - .offset:         56
        .size:           4
        .value_kind:     hidden_block_count_x
      - .offset:         60
        .size:           4
        .value_kind:     hidden_block_count_y
      - .offset:         64
        .size:           4
        .value_kind:     hidden_block_count_z
      - .offset:         68
        .size:           2
        .value_kind:     hidden_group_size_x
      - .offset:         70
        .size:           2
        .value_kind:     hidden_group_size_y
      - .offset:         72
        .size:           2
        .value_kind:     hidden_group_size_z
      - .offset:         74
        .size:           2
        .value_kind:     hidden_remainder_x
      - .offset:         76
        .size:           2
        .value_kind:     hidden_remainder_y
      - .offset:         78
        .size:           2
        .value_kind:     hidden_remainder_z
      - .offset:         96
        .size:           8
        .value_kind:     hidden_global_offset_x
      - .offset:         104
        .size:           8
        .value_kind:     hidden_global_offset_y
      - .offset:         112
        .size:           8
        .value_kind:     hidden_global_offset_z
      - .offset:         120
        .size:           2
        .value_kind:     hidden_grid_dims
    .group_segment_fixed_size: 0
    .kernarg_segment_align: 8
    .kernarg_segment_size: 312
    .language:       OpenCL C
    .language_version:
      - 2
      - 0
    .max_flat_workgroup_size: 1024
    .name:           _ZL25rocblas_symm_scale_kernelILi128ELi8EfPfEviiT1_T2_llli
    .private_segment_fixed_size: 0
    .sgpr_count:     24
    .sgpr_spill_count: 0
    .symbol:         _ZL25rocblas_symm_scale_kernelILi128ELi8EfPfEviiT1_T2_llli.kd
    .uniform_work_group_size: 1
    .uses_dynamic_stack: false
    .vgpr_count:     7
    .vgpr_spill_count: 0
    .wavefront_size: 64
  - .args:
      - .offset:         0
        .size:           1
        .value_kind:     by_value
      - .offset:         4
        .size:           4
        .value_kind:     by_value
      - .offset:         8
        .size:           4
        .value_kind:     by_value
      - .offset:         12
        .size:           4
        .value_kind:     by_value
      - .address_space:  global
        .offset:         16
        .size:           8
        .value_kind:     global_buffer
      - .offset:         24
        .size:           8
        .value_kind:     by_value
      - .offset:         32
        .size:           8
        .value_kind:     by_value
      - .offset:         40
        .size:           8
        .value_kind:     by_value
      - .address_space:  global
        .offset:         48
        .size:           8
        .value_kind:     global_buffer
      - .offset:         56
        .size:           8
        .value_kind:     by_value
      - .offset:         64
        .size:           8
        .value_kind:     by_value
      - .offset:         72
        .size:           8
        .value_kind:     by_value
      - .address_space:  global
        .offset:         80
        .size:           8
        .value_kind:     global_buffer
      - .offset:         88
        .size:           8
        .value_kind:     by_value
      - .offset:         96
        .size:           8
        .value_kind:     by_value
      - .offset:         104
        .size:           8
        .value_kind:     by_value
      - .offset:         112
        .size:           4
        .value_kind:     by_value
      - .offset:         120
        .size:           4
        .value_kind:     hidden_block_count_x
      - .offset:         124
        .size:           4
        .value_kind:     hidden_block_count_y
      - .offset:         128
        .size:           4
        .value_kind:     hidden_block_count_z
      - .offset:         132
        .size:           2
        .value_kind:     hidden_group_size_x
      - .offset:         134
        .size:           2
        .value_kind:     hidden_group_size_y
      - .offset:         136
        .size:           2
        .value_kind:     hidden_group_size_z
      - .offset:         138
        .size:           2
        .value_kind:     hidden_remainder_x
      - .offset:         140
        .size:           2
        .value_kind:     hidden_remainder_y
      - .offset:         142
        .size:           2
        .value_kind:     hidden_remainder_z
      - .offset:         160
        .size:           8
        .value_kind:     hidden_global_offset_x
      - .offset:         168
        .size:           8
        .value_kind:     hidden_global_offset_y
      - .offset:         176
        .size:           8
        .value_kind:     hidden_global_offset_z
      - .offset:         184
        .size:           2
        .value_kind:     hidden_grid_dims
    .group_segment_fixed_size: 8192
    .kernarg_segment_align: 8
    .kernarg_segment_size: 376
    .language:       OpenCL C
    .language_version:
      - 2
      - 0
    .max_flat_workgroup_size: 1024
    .name:           _ZL24rocblas_symm_hemm_kernelILb0ELb0ELi32EfPKfPfEvbiiT2_T3_lllS4_lllT4_llli
    .private_segment_fixed_size: 0
    .sgpr_count:     48
    .sgpr_spill_count: 0
    .symbol:         _ZL24rocblas_symm_hemm_kernelILb0ELb0ELi32EfPKfPfEvbiiT2_T3_lllS4_lllT4_llli.kd
    .uniform_work_group_size: 1
    .uses_dynamic_stack: false
    .vgpr_count:     30
    .vgpr_spill_count: 0
    .wavefront_size: 64
  - .args:
      - .offset:         0
        .size:           1
        .value_kind:     by_value
      - .offset:         4
        .size:           4
        .value_kind:     by_value
      - .offset:         8
        .size:           4
        .value_kind:     by_value
      - .offset:         12
        .size:           4
        .value_kind:     by_value
      - .address_space:  global
        .offset:         16
        .size:           8
        .value_kind:     global_buffer
      - .offset:         24
        .size:           8
        .value_kind:     by_value
      - .offset:         32
        .size:           8
        .value_kind:     by_value
      - .offset:         40
        .size:           8
        .value_kind:     by_value
      - .address_space:  global
        .offset:         48
        .size:           8
        .value_kind:     global_buffer
      - .offset:         56
        .size:           8
        .value_kind:     by_value
      - .offset:         64
        .size:           8
        .value_kind:     by_value
      - .offset:         72
        .size:           8
        .value_kind:     by_value
      - .address_space:  global
        .offset:         80
        .size:           8
        .value_kind:     global_buffer
      - .offset:         88
        .size:           8
        .value_kind:     by_value
      - .offset:         96
        .size:           8
        .value_kind:     by_value
      - .offset:         104
        .size:           8
        .value_kind:     by_value
      - .offset:         112
        .size:           4
        .value_kind:     by_value
      - .offset:         120
        .size:           4
        .value_kind:     hidden_block_count_x
      - .offset:         124
        .size:           4
        .value_kind:     hidden_block_count_y
      - .offset:         128
        .size:           4
        .value_kind:     hidden_block_count_z
      - .offset:         132
        .size:           2
        .value_kind:     hidden_group_size_x
      - .offset:         134
        .size:           2
        .value_kind:     hidden_group_size_y
      - .offset:         136
        .size:           2
        .value_kind:     hidden_group_size_z
      - .offset:         138
        .size:           2
        .value_kind:     hidden_remainder_x
      - .offset:         140
        .size:           2
        .value_kind:     hidden_remainder_y
      - .offset:         142
        .size:           2
        .value_kind:     hidden_remainder_z
      - .offset:         160
        .size:           8
        .value_kind:     hidden_global_offset_x
      - .offset:         168
        .size:           8
        .value_kind:     hidden_global_offset_y
      - .offset:         176
        .size:           8
        .value_kind:     hidden_global_offset_z
      - .offset:         184
        .size:           2
        .value_kind:     hidden_grid_dims
    .group_segment_fixed_size: 8192
    .kernarg_segment_align: 8
    .kernarg_segment_size: 376
    .language:       OpenCL C
    .language_version:
      - 2
      - 0
    .max_flat_workgroup_size: 1024
    .name:           _ZL24rocblas_symm_hemm_kernelILb0ELb1ELi32EfPKfPfEvbiiT2_T3_lllS4_lllT4_llli
    .private_segment_fixed_size: 0
    .sgpr_count:     48
    .sgpr_spill_count: 0
    .symbol:         _ZL24rocblas_symm_hemm_kernelILb0ELb1ELi32EfPKfPfEvbiiT2_T3_lllS4_lllT4_llli.kd
    .uniform_work_group_size: 1
    .uses_dynamic_stack: false
    .vgpr_count:     30
    .vgpr_spill_count: 0
    .wavefront_size: 64
  - .args:
      - .offset:         0
        .size:           4
        .value_kind:     by_value
      - .offset:         4
        .size:           4
        .value_kind:     by_value
      - .address_space:  global
        .offset:         8
        .size:           8
        .value_kind:     global_buffer
      - .address_space:  global
        .offset:         16
        .size:           8
        .value_kind:     global_buffer
      - .offset:         24
        .size:           8
        .value_kind:     by_value
      - .offset:         32
        .size:           8
        .value_kind:     by_value
      - .offset:         40
        .size:           8
        .value_kind:     by_value
      - .offset:         48
        .size:           4
        .value_kind:     by_value
      - .offset:         56
        .size:           4
        .value_kind:     hidden_block_count_x
      - .offset:         60
        .size:           4
        .value_kind:     hidden_block_count_y
      - .offset:         64
        .size:           4
        .value_kind:     hidden_block_count_z
      - .offset:         68
        .size:           2
        .value_kind:     hidden_group_size_x
      - .offset:         70
        .size:           2
        .value_kind:     hidden_group_size_y
      - .offset:         72
        .size:           2
        .value_kind:     hidden_group_size_z
      - .offset:         74
        .size:           2
        .value_kind:     hidden_remainder_x
      - .offset:         76
        .size:           2
        .value_kind:     hidden_remainder_y
      - .offset:         78
        .size:           2
        .value_kind:     hidden_remainder_z
      - .offset:         96
        .size:           8
        .value_kind:     hidden_global_offset_x
      - .offset:         104
        .size:           8
        .value_kind:     hidden_global_offset_y
      - .offset:         112
        .size:           8
        .value_kind:     hidden_global_offset_z
      - .offset:         120
        .size:           2
        .value_kind:     hidden_grid_dims
    .group_segment_fixed_size: 0
    .kernarg_segment_align: 8
    .kernarg_segment_size: 312
    .language:       OpenCL C
    .language_version:
      - 2
      - 0
    .max_flat_workgroup_size: 1024
    .name:           _ZL25rocblas_symm_scale_kernelILi128ELi8EPKdPdEviiT1_T2_llli
    .private_segment_fixed_size: 0
    .sgpr_count:     24
    .sgpr_spill_count: 0
    .symbol:         _ZL25rocblas_symm_scale_kernelILi128ELi8EPKdPdEviiT1_T2_llli.kd
    .uniform_work_group_size: 1
    .uses_dynamic_stack: false
    .vgpr_count:     7
    .vgpr_spill_count: 0
    .wavefront_size: 64
  - .args:
      - .offset:         0
        .size:           1
        .value_kind:     by_value
      - .offset:         4
        .size:           4
        .value_kind:     by_value
      - .offset:         8
        .size:           4
        .value_kind:     by_value
      - .address_space:  global
        .offset:         16
        .size:           8
        .value_kind:     global_buffer
      - .address_space:  global
        .offset:         24
        .size:           8
        .value_kind:     global_buffer
      - .offset:         32
        .size:           8
        .value_kind:     by_value
      - .offset:         40
        .size:           8
        .value_kind:     by_value
      - .offset:         48
        .size:           8
        .value_kind:     by_value
      - .address_space:  global
        .offset:         56
        .size:           8
        .value_kind:     global_buffer
      - .offset:         64
        .size:           8
        .value_kind:     by_value
      - .offset:         72
        .size:           8
        .value_kind:     by_value
      - .offset:         80
        .size:           8
        .value_kind:     by_value
      - .address_space:  global
        .offset:         88
        .size:           8
        .value_kind:     global_buffer
      - .offset:         96
        .size:           8
        .value_kind:     by_value
      - .offset:         104
        .size:           8
        .value_kind:     by_value
      - .offset:         112
        .size:           8
        .value_kind:     by_value
      - .offset:         120
        .size:           4
        .value_kind:     by_value
      - .offset:         128
        .size:           4
        .value_kind:     hidden_block_count_x
      - .offset:         132
        .size:           4
        .value_kind:     hidden_block_count_y
      - .offset:         136
        .size:           4
        .value_kind:     hidden_block_count_z
      - .offset:         140
        .size:           2
        .value_kind:     hidden_group_size_x
      - .offset:         142
        .size:           2
        .value_kind:     hidden_group_size_y
      - .offset:         144
        .size:           2
        .value_kind:     hidden_group_size_z
      - .offset:         146
        .size:           2
        .value_kind:     hidden_remainder_x
      - .offset:         148
        .size:           2
        .value_kind:     hidden_remainder_y
      - .offset:         150
        .size:           2
        .value_kind:     hidden_remainder_z
      - .offset:         168
        .size:           8
        .value_kind:     hidden_global_offset_x
      - .offset:         176
        .size:           8
        .value_kind:     hidden_global_offset_y
      - .offset:         184
        .size:           8
        .value_kind:     hidden_global_offset_z
      - .offset:         192
        .size:           2
        .value_kind:     hidden_grid_dims
    .group_segment_fixed_size: 16384
    .kernarg_segment_align: 8
    .kernarg_segment_size: 384
    .language:       OpenCL C
    .language_version:
      - 2
      - 0
    .max_flat_workgroup_size: 1024
    .name:           _ZL24rocblas_symm_hemm_kernelILb0ELb0ELi32EPKdS1_PdEvbiiT2_T3_lllS4_lllT4_llli
    .private_segment_fixed_size: 0
    .sgpr_count:     48
    .sgpr_spill_count: 0
    .symbol:         _ZL24rocblas_symm_hemm_kernelILb0ELb0ELi32EPKdS1_PdEvbiiT2_T3_lllS4_lllT4_llli.kd
    .uniform_work_group_size: 1
    .uses_dynamic_stack: false
    .vgpr_count:     29
    .vgpr_spill_count: 0
    .wavefront_size: 64
  - .args:
      - .offset:         0
        .size:           1
        .value_kind:     by_value
      - .offset:         4
        .size:           4
        .value_kind:     by_value
      - .offset:         8
        .size:           4
        .value_kind:     by_value
      - .address_space:  global
        .offset:         16
        .size:           8
        .value_kind:     global_buffer
      - .address_space:  global
        .offset:         24
        .size:           8
        .value_kind:     global_buffer
      - .offset:         32
        .size:           8
        .value_kind:     by_value
      - .offset:         40
        .size:           8
        .value_kind:     by_value
      - .offset:         48
        .size:           8
        .value_kind:     by_value
      - .address_space:  global
        .offset:         56
        .size:           8
        .value_kind:     global_buffer
      - .offset:         64
        .size:           8
        .value_kind:     by_value
      - .offset:         72
        .size:           8
        .value_kind:     by_value
      - .offset:         80
        .size:           8
        .value_kind:     by_value
      - .address_space:  global
        .offset:         88
        .size:           8
        .value_kind:     global_buffer
      - .offset:         96
        .size:           8
        .value_kind:     by_value
      - .offset:         104
        .size:           8
        .value_kind:     by_value
      - .offset:         112
        .size:           8
        .value_kind:     by_value
      - .offset:         120
        .size:           4
        .value_kind:     by_value
      - .offset:         128
        .size:           4
        .value_kind:     hidden_block_count_x
      - .offset:         132
        .size:           4
        .value_kind:     hidden_block_count_y
      - .offset:         136
        .size:           4
        .value_kind:     hidden_block_count_z
      - .offset:         140
        .size:           2
        .value_kind:     hidden_group_size_x
      - .offset:         142
        .size:           2
        .value_kind:     hidden_group_size_y
      - .offset:         144
        .size:           2
        .value_kind:     hidden_group_size_z
      - .offset:         146
        .size:           2
        .value_kind:     hidden_remainder_x
      - .offset:         148
        .size:           2
        .value_kind:     hidden_remainder_y
      - .offset:         150
        .size:           2
        .value_kind:     hidden_remainder_z
      - .offset:         168
        .size:           8
        .value_kind:     hidden_global_offset_x
      - .offset:         176
        .size:           8
        .value_kind:     hidden_global_offset_y
      - .offset:         184
        .size:           8
        .value_kind:     hidden_global_offset_z
      - .offset:         192
        .size:           2
        .value_kind:     hidden_grid_dims
    .group_segment_fixed_size: 16384
    .kernarg_segment_align: 8
    .kernarg_segment_size: 384
    .language:       OpenCL C
    .language_version:
      - 2
      - 0
    .max_flat_workgroup_size: 1024
    .name:           _ZL24rocblas_symm_hemm_kernelILb0ELb1ELi32EPKdS1_PdEvbiiT2_T3_lllS4_lllT4_llli
    .private_segment_fixed_size: 0
    .sgpr_count:     48
    .sgpr_spill_count: 0
    .symbol:         _ZL24rocblas_symm_hemm_kernelILb0ELb1ELi32EPKdS1_PdEvbiiT2_T3_lllS4_lllT4_llli.kd
    .uniform_work_group_size: 1
    .uses_dynamic_stack: false
    .vgpr_count:     28
    .vgpr_spill_count: 0
    .wavefront_size: 64
  - .args:
      - .offset:         0
        .size:           4
        .value_kind:     by_value
      - .offset:         4
        .size:           4
        .value_kind:     by_value
      - .offset:         8
        .size:           8
        .value_kind:     by_value
      - .address_space:  global
        .offset:         16
        .size:           8
        .value_kind:     global_buffer
      - .offset:         24
        .size:           8
        .value_kind:     by_value
      - .offset:         32
        .size:           8
        .value_kind:     by_value
      - .offset:         40
        .size:           8
        .value_kind:     by_value
      - .offset:         48
        .size:           4
        .value_kind:     by_value
      - .offset:         56
        .size:           4
        .value_kind:     hidden_block_count_x
      - .offset:         60
        .size:           4
        .value_kind:     hidden_block_count_y
      - .offset:         64
        .size:           4
        .value_kind:     hidden_block_count_z
      - .offset:         68
        .size:           2
        .value_kind:     hidden_group_size_x
      - .offset:         70
        .size:           2
        .value_kind:     hidden_group_size_y
      - .offset:         72
        .size:           2
        .value_kind:     hidden_group_size_z
      - .offset:         74
        .size:           2
        .value_kind:     hidden_remainder_x
      - .offset:         76
        .size:           2
        .value_kind:     hidden_remainder_y
      - .offset:         78
        .size:           2
        .value_kind:     hidden_remainder_z
      - .offset:         96
        .size:           8
        .value_kind:     hidden_global_offset_x
      - .offset:         104
        .size:           8
        .value_kind:     hidden_global_offset_y
      - .offset:         112
        .size:           8
        .value_kind:     hidden_global_offset_z
      - .offset:         120
        .size:           2
        .value_kind:     hidden_grid_dims
    .group_segment_fixed_size: 0
    .kernarg_segment_align: 8
    .kernarg_segment_size: 312
    .language:       OpenCL C
    .language_version:
      - 2
      - 0
    .max_flat_workgroup_size: 1024
    .name:           _ZL25rocblas_symm_scale_kernelILi128ELi8EdPdEviiT1_T2_llli
    .private_segment_fixed_size: 0
    .sgpr_count:     24
    .sgpr_spill_count: 0
    .symbol:         _ZL25rocblas_symm_scale_kernelILi128ELi8EdPdEviiT1_T2_llli.kd
    .uniform_work_group_size: 1
    .uses_dynamic_stack: false
    .vgpr_count:     7
    .vgpr_spill_count: 0
    .wavefront_size: 64
  - .args:
      - .offset:         0
        .size:           1
        .value_kind:     by_value
      - .offset:         4
        .size:           4
        .value_kind:     by_value
      - .offset:         8
        .size:           4
        .value_kind:     by_value
      - .offset:         16
        .size:           8
        .value_kind:     by_value
      - .address_space:  global
        .offset:         24
        .size:           8
        .value_kind:     global_buffer
      - .offset:         32
        .size:           8
        .value_kind:     by_value
      - .offset:         40
        .size:           8
        .value_kind:     by_value
      - .offset:         48
        .size:           8
        .value_kind:     by_value
      - .address_space:  global
        .offset:         56
        .size:           8
        .value_kind:     global_buffer
      - .offset:         64
        .size:           8
        .value_kind:     by_value
      - .offset:         72
        .size:           8
        .value_kind:     by_value
      - .offset:         80
        .size:           8
        .value_kind:     by_value
      - .address_space:  global
        .offset:         88
        .size:           8
        .value_kind:     global_buffer
      - .offset:         96
        .size:           8
        .value_kind:     by_value
      - .offset:         104
        .size:           8
        .value_kind:     by_value
      - .offset:         112
        .size:           8
        .value_kind:     by_value
      - .offset:         120
        .size:           4
        .value_kind:     by_value
      - .offset:         128
        .size:           4
        .value_kind:     hidden_block_count_x
      - .offset:         132
        .size:           4
        .value_kind:     hidden_block_count_y
      - .offset:         136
        .size:           4
        .value_kind:     hidden_block_count_z
      - .offset:         140
        .size:           2
        .value_kind:     hidden_group_size_x
      - .offset:         142
        .size:           2
        .value_kind:     hidden_group_size_y
      - .offset:         144
        .size:           2
        .value_kind:     hidden_group_size_z
      - .offset:         146
        .size:           2
        .value_kind:     hidden_remainder_x
      - .offset:         148
        .size:           2
        .value_kind:     hidden_remainder_y
      - .offset:         150
        .size:           2
        .value_kind:     hidden_remainder_z
      - .offset:         168
        .size:           8
        .value_kind:     hidden_global_offset_x
      - .offset:         176
        .size:           8
        .value_kind:     hidden_global_offset_y
      - .offset:         184
        .size:           8
        .value_kind:     hidden_global_offset_z
      - .offset:         192
        .size:           2
        .value_kind:     hidden_grid_dims
    .group_segment_fixed_size: 16384
    .kernarg_segment_align: 8
    .kernarg_segment_size: 384
    .language:       OpenCL C
    .language_version:
      - 2
      - 0
    .max_flat_workgroup_size: 1024
    .name:           _ZL24rocblas_symm_hemm_kernelILb0ELb0ELi32EdPKdPdEvbiiT2_T3_lllS4_lllT4_llli
    .private_segment_fixed_size: 0
    .sgpr_count:     48
    .sgpr_spill_count: 0
    .symbol:         _ZL24rocblas_symm_hemm_kernelILb0ELb0ELi32EdPKdPdEvbiiT2_T3_lllS4_lllT4_llli.kd
    .uniform_work_group_size: 1
    .uses_dynamic_stack: false
    .vgpr_count:     29
    .vgpr_spill_count: 0
    .wavefront_size: 64
  - .args:
      - .offset:         0
        .size:           1
        .value_kind:     by_value
      - .offset:         4
        .size:           4
        .value_kind:     by_value
      - .offset:         8
        .size:           4
        .value_kind:     by_value
      - .offset:         16
        .size:           8
        .value_kind:     by_value
      - .address_space:  global
        .offset:         24
        .size:           8
        .value_kind:     global_buffer
      - .offset:         32
        .size:           8
        .value_kind:     by_value
      - .offset:         40
        .size:           8
        .value_kind:     by_value
      - .offset:         48
        .size:           8
        .value_kind:     by_value
      - .address_space:  global
        .offset:         56
        .size:           8
        .value_kind:     global_buffer
      - .offset:         64
        .size:           8
        .value_kind:     by_value
      - .offset:         72
        .size:           8
        .value_kind:     by_value
      - .offset:         80
        .size:           8
        .value_kind:     by_value
      - .address_space:  global
        .offset:         88
        .size:           8
        .value_kind:     global_buffer
      - .offset:         96
        .size:           8
        .value_kind:     by_value
      - .offset:         104
        .size:           8
        .value_kind:     by_value
      - .offset:         112
        .size:           8
        .value_kind:     by_value
      - .offset:         120
        .size:           4
        .value_kind:     by_value
      - .offset:         128
        .size:           4
        .value_kind:     hidden_block_count_x
      - .offset:         132
        .size:           4
        .value_kind:     hidden_block_count_y
      - .offset:         136
        .size:           4
        .value_kind:     hidden_block_count_z
      - .offset:         140
        .size:           2
        .value_kind:     hidden_group_size_x
      - .offset:         142
        .size:           2
        .value_kind:     hidden_group_size_y
      - .offset:         144
        .size:           2
        .value_kind:     hidden_group_size_z
      - .offset:         146
        .size:           2
        .value_kind:     hidden_remainder_x
      - .offset:         148
        .size:           2
        .value_kind:     hidden_remainder_y
      - .offset:         150
        .size:           2
        .value_kind:     hidden_remainder_z
      - .offset:         168
        .size:           8
        .value_kind:     hidden_global_offset_x
      - .offset:         176
        .size:           8
        .value_kind:     hidden_global_offset_y
      - .offset:         184
        .size:           8
        .value_kind:     hidden_global_offset_z
      - .offset:         192
        .size:           2
        .value_kind:     hidden_grid_dims
    .group_segment_fixed_size: 16384
    .kernarg_segment_align: 8
    .kernarg_segment_size: 384
    .language:       OpenCL C
    .language_version:
      - 2
      - 0
    .max_flat_workgroup_size: 1024
    .name:           _ZL24rocblas_symm_hemm_kernelILb0ELb1ELi32EdPKdPdEvbiiT2_T3_lllS4_lllT4_llli
    .private_segment_fixed_size: 0
    .sgpr_count:     48
    .sgpr_spill_count: 0
    .symbol:         _ZL24rocblas_symm_hemm_kernelILb0ELb1ELi32EdPKdPdEvbiiT2_T3_lllS4_lllT4_llli.kd
    .uniform_work_group_size: 1
    .uses_dynamic_stack: false
    .vgpr_count:     28
    .vgpr_spill_count: 0
    .wavefront_size: 64
  - .args:
      - .offset:         0
        .size:           4
        .value_kind:     by_value
      - .offset:         4
        .size:           4
        .value_kind:     by_value
      - .address_space:  global
        .offset:         8
        .size:           8
        .value_kind:     global_buffer
      - .address_space:  global
        .offset:         16
        .size:           8
        .value_kind:     global_buffer
      - .offset:         24
        .size:           8
        .value_kind:     by_value
      - .offset:         32
        .size:           8
        .value_kind:     by_value
      - .offset:         40
        .size:           8
        .value_kind:     by_value
      - .offset:         48
        .size:           4
        .value_kind:     by_value
      - .offset:         56
        .size:           4
        .value_kind:     hidden_block_count_x
      - .offset:         60
        .size:           4
        .value_kind:     hidden_block_count_y
      - .offset:         64
        .size:           4
        .value_kind:     hidden_block_count_z
      - .offset:         68
        .size:           2
        .value_kind:     hidden_group_size_x
      - .offset:         70
        .size:           2
        .value_kind:     hidden_group_size_y
      - .offset:         72
        .size:           2
        .value_kind:     hidden_group_size_z
      - .offset:         74
        .size:           2
        .value_kind:     hidden_remainder_x
      - .offset:         76
        .size:           2
        .value_kind:     hidden_remainder_y
      - .offset:         78
        .size:           2
        .value_kind:     hidden_remainder_z
      - .offset:         96
        .size:           8
        .value_kind:     hidden_global_offset_x
      - .offset:         104
        .size:           8
        .value_kind:     hidden_global_offset_y
      - .offset:         112
        .size:           8
        .value_kind:     hidden_global_offset_z
      - .offset:         120
        .size:           2
        .value_kind:     hidden_grid_dims
    .group_segment_fixed_size: 0
    .kernarg_segment_align: 8
    .kernarg_segment_size: 312
    .language:       OpenCL C
    .language_version:
      - 2
      - 0
    .max_flat_workgroup_size: 1024
    .name:           _ZL25rocblas_symm_scale_kernelILi128ELi8EPK19rocblas_complex_numIfEPS1_EviiT1_T2_llli
    .private_segment_fixed_size: 0
    .sgpr_count:     24
    .sgpr_spill_count: 0
    .symbol:         _ZL25rocblas_symm_scale_kernelILi128ELi8EPK19rocblas_complex_numIfEPS1_EviiT1_T2_llli.kd
    .uniform_work_group_size: 1
    .uses_dynamic_stack: false
    .vgpr_count:     9
    .vgpr_spill_count: 0
    .wavefront_size: 64
  - .args:
      - .offset:         0
        .size:           1
        .value_kind:     by_value
      - .offset:         4
        .size:           4
        .value_kind:     by_value
      - .offset:         8
        .size:           4
        .value_kind:     by_value
      - .address_space:  global
        .offset:         16
        .size:           8
        .value_kind:     global_buffer
      - .address_space:  global
        .offset:         24
        .size:           8
        .value_kind:     global_buffer
      - .offset:         32
        .size:           8
        .value_kind:     by_value
      - .offset:         40
        .size:           8
        .value_kind:     by_value
      - .offset:         48
        .size:           8
        .value_kind:     by_value
      - .address_space:  global
        .offset:         56
        .size:           8
        .value_kind:     global_buffer
      - .offset:         64
        .size:           8
        .value_kind:     by_value
      - .offset:         72
        .size:           8
        .value_kind:     by_value
      - .offset:         80
        .size:           8
        .value_kind:     by_value
      - .address_space:  global
        .offset:         88
        .size:           8
        .value_kind:     global_buffer
      - .offset:         96
        .size:           8
        .value_kind:     by_value
      - .offset:         104
        .size:           8
        .value_kind:     by_value
      - .offset:         112
        .size:           8
        .value_kind:     by_value
      - .offset:         120
        .size:           4
        .value_kind:     by_value
      - .offset:         128
        .size:           4
        .value_kind:     hidden_block_count_x
      - .offset:         132
        .size:           4
        .value_kind:     hidden_block_count_y
      - .offset:         136
        .size:           4
        .value_kind:     hidden_block_count_z
      - .offset:         140
        .size:           2
        .value_kind:     hidden_group_size_x
      - .offset:         142
        .size:           2
        .value_kind:     hidden_group_size_y
      - .offset:         144
        .size:           2
        .value_kind:     hidden_group_size_z
      - .offset:         146
        .size:           2
        .value_kind:     hidden_remainder_x
      - .offset:         148
        .size:           2
        .value_kind:     hidden_remainder_y
      - .offset:         150
        .size:           2
        .value_kind:     hidden_remainder_z
      - .offset:         168
        .size:           8
        .value_kind:     hidden_global_offset_x
      - .offset:         176
        .size:           8
        .value_kind:     hidden_global_offset_y
      - .offset:         184
        .size:           8
        .value_kind:     hidden_global_offset_z
      - .offset:         192
        .size:           2
        .value_kind:     hidden_grid_dims
    .group_segment_fixed_size: 16384
    .kernarg_segment_align: 8
    .kernarg_segment_size: 384
    .language:       OpenCL C
    .language_version:
      - 2
      - 0
    .max_flat_workgroup_size: 1024
    .name:           _ZL24rocblas_symm_hemm_kernelILb0ELb0ELi32EPK19rocblas_complex_numIfES3_PS1_EvbiiT2_T3_lllS6_lllT4_llli
    .private_segment_fixed_size: 0
    .sgpr_count:     48
    .sgpr_spill_count: 0
    .symbol:         _ZL24rocblas_symm_hemm_kernelILb0ELb0ELi32EPK19rocblas_complex_numIfES3_PS1_EvbiiT2_T3_lllS6_lllT4_llli.kd
    .uniform_work_group_size: 1
    .uses_dynamic_stack: false
    .vgpr_count:     37
    .vgpr_spill_count: 0
    .wavefront_size: 64
  - .args:
      - .offset:         0
        .size:           1
        .value_kind:     by_value
      - .offset:         4
        .size:           4
        .value_kind:     by_value
      - .offset:         8
        .size:           4
        .value_kind:     by_value
      - .address_space:  global
        .offset:         16
        .size:           8
        .value_kind:     global_buffer
      - .address_space:  global
        .offset:         24
        .size:           8
        .value_kind:     global_buffer
      - .offset:         32
        .size:           8
        .value_kind:     by_value
      - .offset:         40
        .size:           8
        .value_kind:     by_value
      - .offset:         48
        .size:           8
        .value_kind:     by_value
      - .address_space:  global
        .offset:         56
        .size:           8
        .value_kind:     global_buffer
      - .offset:         64
        .size:           8
        .value_kind:     by_value
      - .offset:         72
        .size:           8
        .value_kind:     by_value
      - .offset:         80
        .size:           8
        .value_kind:     by_value
      - .address_space:  global
        .offset:         88
        .size:           8
        .value_kind:     global_buffer
      - .offset:         96
        .size:           8
        .value_kind:     by_value
      - .offset:         104
        .size:           8
        .value_kind:     by_value
      - .offset:         112
        .size:           8
        .value_kind:     by_value
      - .offset:         120
        .size:           4
        .value_kind:     by_value
      - .offset:         128
        .size:           4
        .value_kind:     hidden_block_count_x
      - .offset:         132
        .size:           4
        .value_kind:     hidden_block_count_y
      - .offset:         136
        .size:           4
        .value_kind:     hidden_block_count_z
      - .offset:         140
        .size:           2
        .value_kind:     hidden_group_size_x
      - .offset:         142
        .size:           2
        .value_kind:     hidden_group_size_y
      - .offset:         144
        .size:           2
        .value_kind:     hidden_group_size_z
      - .offset:         146
        .size:           2
        .value_kind:     hidden_remainder_x
      - .offset:         148
        .size:           2
        .value_kind:     hidden_remainder_y
      - .offset:         150
        .size:           2
        .value_kind:     hidden_remainder_z
      - .offset:         168
        .size:           8
        .value_kind:     hidden_global_offset_x
      - .offset:         176
        .size:           8
        .value_kind:     hidden_global_offset_y
      - .offset:         184
        .size:           8
        .value_kind:     hidden_global_offset_z
      - .offset:         192
        .size:           2
        .value_kind:     hidden_grid_dims
    .group_segment_fixed_size: 16384
    .kernarg_segment_align: 8
    .kernarg_segment_size: 384
    .language:       OpenCL C
    .language_version:
      - 2
      - 0
    .max_flat_workgroup_size: 1024
    .name:           _ZL24rocblas_symm_hemm_kernelILb0ELb1ELi32EPK19rocblas_complex_numIfES3_PS1_EvbiiT2_T3_lllS6_lllT4_llli
    .private_segment_fixed_size: 0
    .sgpr_count:     48
    .sgpr_spill_count: 0
    .symbol:         _ZL24rocblas_symm_hemm_kernelILb0ELb1ELi32EPK19rocblas_complex_numIfES3_PS1_EvbiiT2_T3_lllS6_lllT4_llli.kd
    .uniform_work_group_size: 1
    .uses_dynamic_stack: false
    .vgpr_count:     37
    .vgpr_spill_count: 0
    .wavefront_size: 64
  - .args:
      - .offset:         0
        .size:           4
        .value_kind:     by_value
      - .offset:         4
        .size:           4
        .value_kind:     by_value
      - .offset:         8
        .size:           8
        .value_kind:     by_value
      - .address_space:  global
        .offset:         16
        .size:           8
        .value_kind:     global_buffer
      - .offset:         24
        .size:           8
        .value_kind:     by_value
      - .offset:         32
        .size:           8
        .value_kind:     by_value
      - .offset:         40
        .size:           8
        .value_kind:     by_value
      - .offset:         48
        .size:           4
        .value_kind:     by_value
      - .offset:         56
        .size:           4
        .value_kind:     hidden_block_count_x
      - .offset:         60
        .size:           4
        .value_kind:     hidden_block_count_y
      - .offset:         64
        .size:           4
        .value_kind:     hidden_block_count_z
      - .offset:         68
        .size:           2
        .value_kind:     hidden_group_size_x
      - .offset:         70
        .size:           2
        .value_kind:     hidden_group_size_y
      - .offset:         72
        .size:           2
        .value_kind:     hidden_group_size_z
      - .offset:         74
        .size:           2
        .value_kind:     hidden_remainder_x
      - .offset:         76
        .size:           2
        .value_kind:     hidden_remainder_y
      - .offset:         78
        .size:           2
        .value_kind:     hidden_remainder_z
      - .offset:         96
        .size:           8
        .value_kind:     hidden_global_offset_x
      - .offset:         104
        .size:           8
        .value_kind:     hidden_global_offset_y
      - .offset:         112
        .size:           8
        .value_kind:     hidden_global_offset_z
      - .offset:         120
        .size:           2
        .value_kind:     hidden_grid_dims
    .group_segment_fixed_size: 0
    .kernarg_segment_align: 8
    .kernarg_segment_size: 312
    .language:       OpenCL C
    .language_version:
      - 2
      - 0
    .max_flat_workgroup_size: 1024
    .name:           _ZL25rocblas_symm_scale_kernelILi128ELi8E19rocblas_complex_numIfEPS1_EviiT1_T2_llli
    .private_segment_fixed_size: 0
    .sgpr_count:     24
    .sgpr_spill_count: 0
    .symbol:         _ZL25rocblas_symm_scale_kernelILi128ELi8E19rocblas_complex_numIfEPS1_EviiT1_T2_llli.kd
    .uniform_work_group_size: 1
    .uses_dynamic_stack: false
    .vgpr_count:     9
    .vgpr_spill_count: 0
    .wavefront_size: 64
  - .args:
      - .offset:         0
        .size:           1
        .value_kind:     by_value
      - .offset:         4
        .size:           4
        .value_kind:     by_value
      - .offset:         8
        .size:           4
        .value_kind:     by_value
      - .offset:         12
        .size:           8
        .value_kind:     by_value
      - .address_space:  global
        .offset:         24
        .size:           8
        .value_kind:     global_buffer
      - .offset:         32
        .size:           8
        .value_kind:     by_value
      - .offset:         40
        .size:           8
        .value_kind:     by_value
      - .offset:         48
        .size:           8
        .value_kind:     by_value
      - .address_space:  global
        .offset:         56
        .size:           8
        .value_kind:     global_buffer
      - .offset:         64
        .size:           8
        .value_kind:     by_value
      - .offset:         72
        .size:           8
        .value_kind:     by_value
      - .offset:         80
        .size:           8
        .value_kind:     by_value
      - .address_space:  global
        .offset:         88
        .size:           8
        .value_kind:     global_buffer
      - .offset:         96
        .size:           8
        .value_kind:     by_value
      - .offset:         104
        .size:           8
        .value_kind:     by_value
      - .offset:         112
        .size:           8
        .value_kind:     by_value
      - .offset:         120
        .size:           4
        .value_kind:     by_value
      - .offset:         128
        .size:           4
        .value_kind:     hidden_block_count_x
      - .offset:         132
        .size:           4
        .value_kind:     hidden_block_count_y
      - .offset:         136
        .size:           4
        .value_kind:     hidden_block_count_z
      - .offset:         140
        .size:           2
        .value_kind:     hidden_group_size_x
      - .offset:         142
        .size:           2
        .value_kind:     hidden_group_size_y
      - .offset:         144
        .size:           2
        .value_kind:     hidden_group_size_z
      - .offset:         146
        .size:           2
        .value_kind:     hidden_remainder_x
      - .offset:         148
        .size:           2
        .value_kind:     hidden_remainder_y
      - .offset:         150
        .size:           2
        .value_kind:     hidden_remainder_z
      - .offset:         168
        .size:           8
        .value_kind:     hidden_global_offset_x
      - .offset:         176
        .size:           8
        .value_kind:     hidden_global_offset_y
      - .offset:         184
        .size:           8
        .value_kind:     hidden_global_offset_z
      - .offset:         192
        .size:           2
        .value_kind:     hidden_grid_dims
    .group_segment_fixed_size: 16384
    .kernarg_segment_align: 8
    .kernarg_segment_size: 384
    .language:       OpenCL C
    .language_version:
      - 2
      - 0
    .max_flat_workgroup_size: 1024
    .name:           _ZL24rocblas_symm_hemm_kernelILb0ELb0ELi32E19rocblas_complex_numIfEPKS1_PS1_EvbiiT2_T3_lllS6_lllT4_llli
    .private_segment_fixed_size: 0
    .sgpr_count:     48
    .sgpr_spill_count: 0
    .symbol:         _ZL24rocblas_symm_hemm_kernelILb0ELb0ELi32E19rocblas_complex_numIfEPKS1_PS1_EvbiiT2_T3_lllS6_lllT4_llli.kd
    .uniform_work_group_size: 1
    .uses_dynamic_stack: false
    .vgpr_count:     37
    .vgpr_spill_count: 0
    .wavefront_size: 64
  - .args:
      - .offset:         0
        .size:           1
        .value_kind:     by_value
      - .offset:         4
        .size:           4
        .value_kind:     by_value
      - .offset:         8
        .size:           4
        .value_kind:     by_value
      - .offset:         12
        .size:           8
        .value_kind:     by_value
      - .address_space:  global
        .offset:         24
        .size:           8
        .value_kind:     global_buffer
      - .offset:         32
        .size:           8
        .value_kind:     by_value
      - .offset:         40
        .size:           8
        .value_kind:     by_value
      - .offset:         48
        .size:           8
        .value_kind:     by_value
      - .address_space:  global
        .offset:         56
        .size:           8
        .value_kind:     global_buffer
      - .offset:         64
        .size:           8
        .value_kind:     by_value
      - .offset:         72
        .size:           8
        .value_kind:     by_value
      - .offset:         80
        .size:           8
        .value_kind:     by_value
      - .address_space:  global
        .offset:         88
        .size:           8
        .value_kind:     global_buffer
      - .offset:         96
        .size:           8
        .value_kind:     by_value
      - .offset:         104
        .size:           8
        .value_kind:     by_value
      - .offset:         112
        .size:           8
        .value_kind:     by_value
      - .offset:         120
        .size:           4
        .value_kind:     by_value
      - .offset:         128
        .size:           4
        .value_kind:     hidden_block_count_x
      - .offset:         132
        .size:           4
        .value_kind:     hidden_block_count_y
      - .offset:         136
        .size:           4
        .value_kind:     hidden_block_count_z
      - .offset:         140
        .size:           2
        .value_kind:     hidden_group_size_x
      - .offset:         142
        .size:           2
        .value_kind:     hidden_group_size_y
      - .offset:         144
        .size:           2
        .value_kind:     hidden_group_size_z
      - .offset:         146
        .size:           2
        .value_kind:     hidden_remainder_x
      - .offset:         148
        .size:           2
        .value_kind:     hidden_remainder_y
      - .offset:         150
        .size:           2
        .value_kind:     hidden_remainder_z
      - .offset:         168
        .size:           8
        .value_kind:     hidden_global_offset_x
      - .offset:         176
        .size:           8
        .value_kind:     hidden_global_offset_y
      - .offset:         184
        .size:           8
        .value_kind:     hidden_global_offset_z
      - .offset:         192
        .size:           2
        .value_kind:     hidden_grid_dims
    .group_segment_fixed_size: 16384
    .kernarg_segment_align: 8
    .kernarg_segment_size: 384
    .language:       OpenCL C
    .language_version:
      - 2
      - 0
    .max_flat_workgroup_size: 1024
    .name:           _ZL24rocblas_symm_hemm_kernelILb0ELb1ELi32E19rocblas_complex_numIfEPKS1_PS1_EvbiiT2_T3_lllS6_lllT4_llli
    .private_segment_fixed_size: 0
    .sgpr_count:     48
    .sgpr_spill_count: 0
    .symbol:         _ZL24rocblas_symm_hemm_kernelILb0ELb1ELi32E19rocblas_complex_numIfEPKS1_PS1_EvbiiT2_T3_lllS6_lllT4_llli.kd
    .uniform_work_group_size: 1
    .uses_dynamic_stack: false
    .vgpr_count:     37
    .vgpr_spill_count: 0
    .wavefront_size: 64
  - .args:
      - .offset:         0
        .size:           4
        .value_kind:     by_value
      - .offset:         4
        .size:           4
        .value_kind:     by_value
      - .address_space:  global
        .offset:         8
        .size:           8
        .value_kind:     global_buffer
      - .address_space:  global
        .offset:         16
        .size:           8
        .value_kind:     global_buffer
      - .offset:         24
        .size:           8
        .value_kind:     by_value
      - .offset:         32
        .size:           8
        .value_kind:     by_value
      - .offset:         40
        .size:           8
        .value_kind:     by_value
      - .offset:         48
        .size:           4
        .value_kind:     by_value
      - .offset:         56
        .size:           4
        .value_kind:     hidden_block_count_x
      - .offset:         60
        .size:           4
        .value_kind:     hidden_block_count_y
      - .offset:         64
        .size:           4
        .value_kind:     hidden_block_count_z
      - .offset:         68
        .size:           2
        .value_kind:     hidden_group_size_x
      - .offset:         70
        .size:           2
        .value_kind:     hidden_group_size_y
      - .offset:         72
        .size:           2
        .value_kind:     hidden_group_size_z
      - .offset:         74
        .size:           2
        .value_kind:     hidden_remainder_x
      - .offset:         76
        .size:           2
        .value_kind:     hidden_remainder_y
      - .offset:         78
        .size:           2
        .value_kind:     hidden_remainder_z
      - .offset:         96
        .size:           8
        .value_kind:     hidden_global_offset_x
      - .offset:         104
        .size:           8
        .value_kind:     hidden_global_offset_y
      - .offset:         112
        .size:           8
        .value_kind:     hidden_global_offset_z
      - .offset:         120
        .size:           2
        .value_kind:     hidden_grid_dims
    .group_segment_fixed_size: 0
    .kernarg_segment_align: 8
    .kernarg_segment_size: 312
    .language:       OpenCL C
    .language_version:
      - 2
      - 0
    .max_flat_workgroup_size: 1024
    .name:           _ZL25rocblas_symm_scale_kernelILi128ELi8EPK19rocblas_complex_numIdEPS1_EviiT1_T2_llli
    .private_segment_fixed_size: 0
    .sgpr_count:     28
    .sgpr_spill_count: 0
    .symbol:         _ZL25rocblas_symm_scale_kernelILi128ELi8EPK19rocblas_complex_numIdEPS1_EviiT1_T2_llli.kd
    .uniform_work_group_size: 1
    .uses_dynamic_stack: false
    .vgpr_count:     12
    .vgpr_spill_count: 0
    .wavefront_size: 64
  - .args:
      - .offset:         0
        .size:           1
        .value_kind:     by_value
      - .offset:         4
        .size:           4
        .value_kind:     by_value
      - .offset:         8
        .size:           4
        .value_kind:     by_value
      - .address_space:  global
        .offset:         16
        .size:           8
        .value_kind:     global_buffer
      - .address_space:  global
        .offset:         24
        .size:           8
        .value_kind:     global_buffer
      - .offset:         32
        .size:           8
        .value_kind:     by_value
      - .offset:         40
        .size:           8
        .value_kind:     by_value
      - .offset:         48
        .size:           8
        .value_kind:     by_value
      - .address_space:  global
        .offset:         56
        .size:           8
        .value_kind:     global_buffer
      - .offset:         64
        .size:           8
        .value_kind:     by_value
      - .offset:         72
        .size:           8
        .value_kind:     by_value
      - .offset:         80
        .size:           8
        .value_kind:     by_value
      - .address_space:  global
        .offset:         88
        .size:           8
        .value_kind:     global_buffer
      - .offset:         96
        .size:           8
        .value_kind:     by_value
      - .offset:         104
        .size:           8
        .value_kind:     by_value
      - .offset:         112
        .size:           8
        .value_kind:     by_value
      - .offset:         120
        .size:           4
        .value_kind:     by_value
      - .offset:         128
        .size:           4
        .value_kind:     hidden_block_count_x
      - .offset:         132
        .size:           4
        .value_kind:     hidden_block_count_y
      - .offset:         136
        .size:           4
        .value_kind:     hidden_block_count_z
      - .offset:         140
        .size:           2
        .value_kind:     hidden_group_size_x
      - .offset:         142
        .size:           2
        .value_kind:     hidden_group_size_y
      - .offset:         144
        .size:           2
        .value_kind:     hidden_group_size_z
      - .offset:         146
        .size:           2
        .value_kind:     hidden_remainder_x
      - .offset:         148
        .size:           2
        .value_kind:     hidden_remainder_y
      - .offset:         150
        .size:           2
        .value_kind:     hidden_remainder_z
      - .offset:         168
        .size:           8
        .value_kind:     hidden_global_offset_x
      - .offset:         176
        .size:           8
        .value_kind:     hidden_global_offset_y
      - .offset:         184
        .size:           8
        .value_kind:     hidden_global_offset_z
      - .offset:         192
        .size:           2
        .value_kind:     hidden_grid_dims
    .group_segment_fixed_size: 32768
    .kernarg_segment_align: 8
    .kernarg_segment_size: 384
    .language:       OpenCL C
    .language_version:
      - 2
      - 0
    .max_flat_workgroup_size: 1024
    .name:           _ZL24rocblas_symm_hemm_kernelILb0ELb0ELi32EPK19rocblas_complex_numIdES3_PS1_EvbiiT2_T3_lllS6_lllT4_llli
    .private_segment_fixed_size: 0
    .sgpr_count:     52
    .sgpr_spill_count: 0
    .symbol:         _ZL24rocblas_symm_hemm_kernelILb0ELb0ELi32EPK19rocblas_complex_numIdES3_PS1_EvbiiT2_T3_lllS6_lllT4_llli.kd
    .uniform_work_group_size: 1
    .uses_dynamic_stack: false
    .vgpr_count:     49
    .vgpr_spill_count: 0
    .wavefront_size: 64
  - .args:
      - .offset:         0
        .size:           1
        .value_kind:     by_value
      - .offset:         4
        .size:           4
        .value_kind:     by_value
      - .offset:         8
        .size:           4
        .value_kind:     by_value
      - .address_space:  global
        .offset:         16
        .size:           8
        .value_kind:     global_buffer
      - .address_space:  global
        .offset:         24
        .size:           8
        .value_kind:     global_buffer
      - .offset:         32
        .size:           8
        .value_kind:     by_value
      - .offset:         40
        .size:           8
        .value_kind:     by_value
      - .offset:         48
        .size:           8
        .value_kind:     by_value
      - .address_space:  global
        .offset:         56
        .size:           8
        .value_kind:     global_buffer
      - .offset:         64
        .size:           8
        .value_kind:     by_value
      - .offset:         72
        .size:           8
        .value_kind:     by_value
      - .offset:         80
        .size:           8
        .value_kind:     by_value
      - .address_space:  global
        .offset:         88
        .size:           8
        .value_kind:     global_buffer
      - .offset:         96
        .size:           8
        .value_kind:     by_value
      - .offset:         104
        .size:           8
        .value_kind:     by_value
      - .offset:         112
        .size:           8
        .value_kind:     by_value
      - .offset:         120
        .size:           4
        .value_kind:     by_value
      - .offset:         128
        .size:           4
        .value_kind:     hidden_block_count_x
      - .offset:         132
        .size:           4
        .value_kind:     hidden_block_count_y
      - .offset:         136
        .size:           4
        .value_kind:     hidden_block_count_z
      - .offset:         140
        .size:           2
        .value_kind:     hidden_group_size_x
      - .offset:         142
        .size:           2
        .value_kind:     hidden_group_size_y
      - .offset:         144
        .size:           2
        .value_kind:     hidden_group_size_z
      - .offset:         146
        .size:           2
        .value_kind:     hidden_remainder_x
      - .offset:         148
        .size:           2
        .value_kind:     hidden_remainder_y
      - .offset:         150
        .size:           2
        .value_kind:     hidden_remainder_z
      - .offset:         168
        .size:           8
        .value_kind:     hidden_global_offset_x
      - .offset:         176
        .size:           8
        .value_kind:     hidden_global_offset_y
      - .offset:         184
        .size:           8
        .value_kind:     hidden_global_offset_z
      - .offset:         192
        .size:           2
        .value_kind:     hidden_grid_dims
    .group_segment_fixed_size: 32768
    .kernarg_segment_align: 8
    .kernarg_segment_size: 384
    .language:       OpenCL C
    .language_version:
      - 2
      - 0
    .max_flat_workgroup_size: 1024
    .name:           _ZL24rocblas_symm_hemm_kernelILb0ELb1ELi32EPK19rocblas_complex_numIdES3_PS1_EvbiiT2_T3_lllS6_lllT4_llli
    .private_segment_fixed_size: 0
    .sgpr_count:     52
    .sgpr_spill_count: 0
    .symbol:         _ZL24rocblas_symm_hemm_kernelILb0ELb1ELi32EPK19rocblas_complex_numIdES3_PS1_EvbiiT2_T3_lllS6_lllT4_llli.kd
    .uniform_work_group_size: 1
    .uses_dynamic_stack: false
    .vgpr_count:     49
    .vgpr_spill_count: 0
    .wavefront_size: 64
  - .args:
      - .offset:         0
        .size:           4
        .value_kind:     by_value
      - .offset:         4
        .size:           4
        .value_kind:     by_value
      - .offset:         8
        .size:           16
        .value_kind:     by_value
      - .address_space:  global
        .offset:         24
        .size:           8
        .value_kind:     global_buffer
      - .offset:         32
        .size:           8
        .value_kind:     by_value
      - .offset:         40
        .size:           8
        .value_kind:     by_value
      - .offset:         48
        .size:           8
        .value_kind:     by_value
      - .offset:         56
        .size:           4
        .value_kind:     by_value
      - .offset:         64
        .size:           4
        .value_kind:     hidden_block_count_x
      - .offset:         68
        .size:           4
        .value_kind:     hidden_block_count_y
      - .offset:         72
        .size:           4
        .value_kind:     hidden_block_count_z
      - .offset:         76
        .size:           2
        .value_kind:     hidden_group_size_x
      - .offset:         78
        .size:           2
        .value_kind:     hidden_group_size_y
      - .offset:         80
        .size:           2
        .value_kind:     hidden_group_size_z
      - .offset:         82
        .size:           2
        .value_kind:     hidden_remainder_x
      - .offset:         84
        .size:           2
        .value_kind:     hidden_remainder_y
      - .offset:         86
        .size:           2
        .value_kind:     hidden_remainder_z
      - .offset:         104
        .size:           8
        .value_kind:     hidden_global_offset_x
      - .offset:         112
        .size:           8
        .value_kind:     hidden_global_offset_y
      - .offset:         120
        .size:           8
        .value_kind:     hidden_global_offset_z
      - .offset:         128
        .size:           2
        .value_kind:     hidden_grid_dims
    .group_segment_fixed_size: 0
    .kernarg_segment_align: 8
    .kernarg_segment_size: 320
    .language:       OpenCL C
    .language_version:
      - 2
      - 0
    .max_flat_workgroup_size: 1024
    .name:           _ZL25rocblas_symm_scale_kernelILi128ELi8E19rocblas_complex_numIdEPS1_EviiT1_T2_llli
    .private_segment_fixed_size: 0
    .sgpr_count:     28
    .sgpr_spill_count: 0
    .symbol:         _ZL25rocblas_symm_scale_kernelILi128ELi8E19rocblas_complex_numIdEPS1_EviiT1_T2_llli.kd
    .uniform_work_group_size: 1
    .uses_dynamic_stack: false
    .vgpr_count:     12
    .vgpr_spill_count: 0
    .wavefront_size: 64
  - .args:
      - .offset:         0
        .size:           1
        .value_kind:     by_value
      - .offset:         4
        .size:           4
        .value_kind:     by_value
      - .offset:         8
        .size:           4
        .value_kind:     by_value
      - .offset:         16
        .size:           16
        .value_kind:     by_value
      - .address_space:  global
        .offset:         32
        .size:           8
        .value_kind:     global_buffer
      - .offset:         40
        .size:           8
        .value_kind:     by_value
      - .offset:         48
        .size:           8
        .value_kind:     by_value
      - .offset:         56
        .size:           8
        .value_kind:     by_value
      - .address_space:  global
        .offset:         64
        .size:           8
        .value_kind:     global_buffer
      - .offset:         72
        .size:           8
        .value_kind:     by_value
      - .offset:         80
        .size:           8
        .value_kind:     by_value
      - .offset:         88
        .size:           8
        .value_kind:     by_value
      - .address_space:  global
        .offset:         96
        .size:           8
        .value_kind:     global_buffer
      - .offset:         104
        .size:           8
        .value_kind:     by_value
      - .offset:         112
        .size:           8
        .value_kind:     by_value
      - .offset:         120
        .size:           8
        .value_kind:     by_value
      - .offset:         128
        .size:           4
        .value_kind:     by_value
      - .offset:         136
        .size:           4
        .value_kind:     hidden_block_count_x
      - .offset:         140
        .size:           4
        .value_kind:     hidden_block_count_y
      - .offset:         144
        .size:           4
        .value_kind:     hidden_block_count_z
      - .offset:         148
        .size:           2
        .value_kind:     hidden_group_size_x
      - .offset:         150
        .size:           2
        .value_kind:     hidden_group_size_y
      - .offset:         152
        .size:           2
        .value_kind:     hidden_group_size_z
      - .offset:         154
        .size:           2
        .value_kind:     hidden_remainder_x
      - .offset:         156
        .size:           2
        .value_kind:     hidden_remainder_y
      - .offset:         158
        .size:           2
        .value_kind:     hidden_remainder_z
      - .offset:         176
        .size:           8
        .value_kind:     hidden_global_offset_x
      - .offset:         184
        .size:           8
        .value_kind:     hidden_global_offset_y
      - .offset:         192
        .size:           8
        .value_kind:     hidden_global_offset_z
      - .offset:         200
        .size:           2
        .value_kind:     hidden_grid_dims
    .group_segment_fixed_size: 32768
    .kernarg_segment_align: 8
    .kernarg_segment_size: 392
    .language:       OpenCL C
    .language_version:
      - 2
      - 0
    .max_flat_workgroup_size: 1024
    .name:           _ZL24rocblas_symm_hemm_kernelILb0ELb0ELi32E19rocblas_complex_numIdEPKS1_PS1_EvbiiT2_T3_lllS6_lllT4_llli
    .private_segment_fixed_size: 0
    .sgpr_count:     52
    .sgpr_spill_count: 0
    .symbol:         _ZL24rocblas_symm_hemm_kernelILb0ELb0ELi32E19rocblas_complex_numIdEPKS1_PS1_EvbiiT2_T3_lllS6_lllT4_llli.kd
    .uniform_work_group_size: 1
    .uses_dynamic_stack: false
    .vgpr_count:     49
    .vgpr_spill_count: 0
    .wavefront_size: 64
  - .args:
      - .offset:         0
        .size:           1
        .value_kind:     by_value
      - .offset:         4
        .size:           4
        .value_kind:     by_value
      - .offset:         8
        .size:           4
        .value_kind:     by_value
      - .offset:         16
        .size:           16
        .value_kind:     by_value
      - .address_space:  global
        .offset:         32
        .size:           8
        .value_kind:     global_buffer
      - .offset:         40
        .size:           8
        .value_kind:     by_value
      - .offset:         48
        .size:           8
        .value_kind:     by_value
      - .offset:         56
        .size:           8
        .value_kind:     by_value
      - .address_space:  global
        .offset:         64
        .size:           8
        .value_kind:     global_buffer
      - .offset:         72
        .size:           8
        .value_kind:     by_value
      - .offset:         80
        .size:           8
        .value_kind:     by_value
      - .offset:         88
        .size:           8
        .value_kind:     by_value
      - .address_space:  global
        .offset:         96
        .size:           8
        .value_kind:     global_buffer
      - .offset:         104
        .size:           8
        .value_kind:     by_value
      - .offset:         112
        .size:           8
        .value_kind:     by_value
      - .offset:         120
        .size:           8
        .value_kind:     by_value
      - .offset:         128
        .size:           4
        .value_kind:     by_value
      - .offset:         136
        .size:           4
        .value_kind:     hidden_block_count_x
      - .offset:         140
        .size:           4
        .value_kind:     hidden_block_count_y
      - .offset:         144
        .size:           4
        .value_kind:     hidden_block_count_z
      - .offset:         148
        .size:           2
        .value_kind:     hidden_group_size_x
      - .offset:         150
        .size:           2
        .value_kind:     hidden_group_size_y
      - .offset:         152
        .size:           2
        .value_kind:     hidden_group_size_z
      - .offset:         154
        .size:           2
        .value_kind:     hidden_remainder_x
      - .offset:         156
        .size:           2
        .value_kind:     hidden_remainder_y
      - .offset:         158
        .size:           2
        .value_kind:     hidden_remainder_z
      - .offset:         176
        .size:           8
        .value_kind:     hidden_global_offset_x
      - .offset:         184
        .size:           8
        .value_kind:     hidden_global_offset_y
      - .offset:         192
        .size:           8
        .value_kind:     hidden_global_offset_z
      - .offset:         200
        .size:           2
        .value_kind:     hidden_grid_dims
    .group_segment_fixed_size: 32768
    .kernarg_segment_align: 8
    .kernarg_segment_size: 392
    .language:       OpenCL C
    .language_version:
      - 2
      - 0
    .max_flat_workgroup_size: 1024
    .name:           _ZL24rocblas_symm_hemm_kernelILb0ELb1ELi32E19rocblas_complex_numIdEPKS1_PS1_EvbiiT2_T3_lllS6_lllT4_llli
    .private_segment_fixed_size: 0
    .sgpr_count:     48
    .sgpr_spill_count: 0
    .symbol:         _ZL24rocblas_symm_hemm_kernelILb0ELb1ELi32E19rocblas_complex_numIdEPKS1_PS1_EvbiiT2_T3_lllS6_lllT4_llli.kd
    .uniform_work_group_size: 1
    .uses_dynamic_stack: false
    .vgpr_count:     49
    .vgpr_spill_count: 0
    .wavefront_size: 64
  - .args:
      - .offset:         0
        .size:           1
        .value_kind:     by_value
      - .offset:         4
        .size:           4
        .value_kind:     by_value
      - .offset:         8
        .size:           4
        .value_kind:     by_value
      - .address_space:  global
        .offset:         16
        .size:           8
        .value_kind:     global_buffer
      - .address_space:  global
        .offset:         24
        .size:           8
        .value_kind:     global_buffer
      - .offset:         32
        .size:           8
        .value_kind:     by_value
      - .offset:         40
        .size:           8
        .value_kind:     by_value
      - .offset:         48
        .size:           8
        .value_kind:     by_value
      - .address_space:  global
        .offset:         56
        .size:           8
        .value_kind:     global_buffer
      - .offset:         64
        .size:           8
        .value_kind:     by_value
      - .offset:         72
        .size:           8
        .value_kind:     by_value
      - .offset:         80
        .size:           8
        .value_kind:     by_value
      - .address_space:  global
        .offset:         88
        .size:           8
        .value_kind:     global_buffer
      - .offset:         96
        .size:           8
        .value_kind:     by_value
      - .offset:         104
        .size:           8
        .value_kind:     by_value
      - .offset:         112
        .size:           8
        .value_kind:     by_value
      - .offset:         120
        .size:           4
        .value_kind:     by_value
      - .offset:         128
        .size:           4
        .value_kind:     hidden_block_count_x
      - .offset:         132
        .size:           4
        .value_kind:     hidden_block_count_y
      - .offset:         136
        .size:           4
        .value_kind:     hidden_block_count_z
      - .offset:         140
        .size:           2
        .value_kind:     hidden_group_size_x
      - .offset:         142
        .size:           2
        .value_kind:     hidden_group_size_y
      - .offset:         144
        .size:           2
        .value_kind:     hidden_group_size_z
      - .offset:         146
        .size:           2
        .value_kind:     hidden_remainder_x
      - .offset:         148
        .size:           2
        .value_kind:     hidden_remainder_y
      - .offset:         150
        .size:           2
        .value_kind:     hidden_remainder_z
      - .offset:         168
        .size:           8
        .value_kind:     hidden_global_offset_x
      - .offset:         176
        .size:           8
        .value_kind:     hidden_global_offset_y
      - .offset:         184
        .size:           8
        .value_kind:     hidden_global_offset_z
      - .offset:         192
        .size:           2
        .value_kind:     hidden_grid_dims
    .group_segment_fixed_size: 16384
    .kernarg_segment_align: 8
    .kernarg_segment_size: 384
    .language:       OpenCL C
    .language_version:
      - 2
      - 0
    .max_flat_workgroup_size: 1024
    .name:           _ZL24rocblas_symm_hemm_kernelILb1ELb0ELi32EPK19rocblas_complex_numIfES3_PS1_EvbiiT2_T3_lllS6_lllT4_llli
    .private_segment_fixed_size: 0
    .sgpr_count:     48
    .sgpr_spill_count: 0
    .symbol:         _ZL24rocblas_symm_hemm_kernelILb1ELb0ELi32EPK19rocblas_complex_numIfES3_PS1_EvbiiT2_T3_lllS6_lllT4_llli.kd
    .uniform_work_group_size: 1
    .uses_dynamic_stack: false
    .vgpr_count:     39
    .vgpr_spill_count: 0
    .wavefront_size: 64
  - .args:
      - .offset:         0
        .size:           1
        .value_kind:     by_value
      - .offset:         4
        .size:           4
        .value_kind:     by_value
      - .offset:         8
        .size:           4
        .value_kind:     by_value
      - .address_space:  global
        .offset:         16
        .size:           8
        .value_kind:     global_buffer
      - .address_space:  global
        .offset:         24
        .size:           8
        .value_kind:     global_buffer
      - .offset:         32
        .size:           8
        .value_kind:     by_value
      - .offset:         40
        .size:           8
        .value_kind:     by_value
      - .offset:         48
        .size:           8
        .value_kind:     by_value
      - .address_space:  global
        .offset:         56
        .size:           8
        .value_kind:     global_buffer
      - .offset:         64
        .size:           8
        .value_kind:     by_value
      - .offset:         72
        .size:           8
        .value_kind:     by_value
      - .offset:         80
        .size:           8
        .value_kind:     by_value
      - .address_space:  global
        .offset:         88
        .size:           8
        .value_kind:     global_buffer
      - .offset:         96
        .size:           8
        .value_kind:     by_value
      - .offset:         104
        .size:           8
        .value_kind:     by_value
      - .offset:         112
        .size:           8
        .value_kind:     by_value
      - .offset:         120
        .size:           4
        .value_kind:     by_value
      - .offset:         128
        .size:           4
        .value_kind:     hidden_block_count_x
      - .offset:         132
        .size:           4
        .value_kind:     hidden_block_count_y
      - .offset:         136
        .size:           4
        .value_kind:     hidden_block_count_z
      - .offset:         140
        .size:           2
        .value_kind:     hidden_group_size_x
      - .offset:         142
        .size:           2
        .value_kind:     hidden_group_size_y
      - .offset:         144
        .size:           2
        .value_kind:     hidden_group_size_z
      - .offset:         146
        .size:           2
        .value_kind:     hidden_remainder_x
      - .offset:         148
        .size:           2
        .value_kind:     hidden_remainder_y
      - .offset:         150
        .size:           2
        .value_kind:     hidden_remainder_z
      - .offset:         168
        .size:           8
        .value_kind:     hidden_global_offset_x
      - .offset:         176
        .size:           8
        .value_kind:     hidden_global_offset_y
      - .offset:         184
        .size:           8
        .value_kind:     hidden_global_offset_z
      - .offset:         192
        .size:           2
        .value_kind:     hidden_grid_dims
    .group_segment_fixed_size: 16384
    .kernarg_segment_align: 8
    .kernarg_segment_size: 384
    .language:       OpenCL C
    .language_version:
      - 2
      - 0
    .max_flat_workgroup_size: 1024
    .name:           _ZL24rocblas_symm_hemm_kernelILb1ELb1ELi32EPK19rocblas_complex_numIfES3_PS1_EvbiiT2_T3_lllS6_lllT4_llli
    .private_segment_fixed_size: 0
    .sgpr_count:     48
    .sgpr_spill_count: 0
    .symbol:         _ZL24rocblas_symm_hemm_kernelILb1ELb1ELi32EPK19rocblas_complex_numIfES3_PS1_EvbiiT2_T3_lllS6_lllT4_llli.kd
    .uniform_work_group_size: 1
    .uses_dynamic_stack: false
    .vgpr_count:     42
    .vgpr_spill_count: 0
    .wavefront_size: 64
  - .args:
      - .offset:         0
        .size:           1
        .value_kind:     by_value
      - .offset:         4
        .size:           4
        .value_kind:     by_value
      - .offset:         8
        .size:           4
        .value_kind:     by_value
      - .offset:         12
        .size:           8
        .value_kind:     by_value
      - .address_space:  global
        .offset:         24
        .size:           8
        .value_kind:     global_buffer
      - .offset:         32
        .size:           8
        .value_kind:     by_value
      - .offset:         40
        .size:           8
        .value_kind:     by_value
      - .offset:         48
        .size:           8
        .value_kind:     by_value
      - .address_space:  global
        .offset:         56
        .size:           8
        .value_kind:     global_buffer
      - .offset:         64
        .size:           8
        .value_kind:     by_value
      - .offset:         72
        .size:           8
        .value_kind:     by_value
      - .offset:         80
        .size:           8
        .value_kind:     by_value
      - .address_space:  global
        .offset:         88
        .size:           8
        .value_kind:     global_buffer
      - .offset:         96
        .size:           8
        .value_kind:     by_value
      - .offset:         104
        .size:           8
        .value_kind:     by_value
      - .offset:         112
        .size:           8
        .value_kind:     by_value
      - .offset:         120
        .size:           4
        .value_kind:     by_value
      - .offset:         128
        .size:           4
        .value_kind:     hidden_block_count_x
      - .offset:         132
        .size:           4
        .value_kind:     hidden_block_count_y
      - .offset:         136
        .size:           4
        .value_kind:     hidden_block_count_z
      - .offset:         140
        .size:           2
        .value_kind:     hidden_group_size_x
      - .offset:         142
        .size:           2
        .value_kind:     hidden_group_size_y
      - .offset:         144
        .size:           2
        .value_kind:     hidden_group_size_z
      - .offset:         146
        .size:           2
        .value_kind:     hidden_remainder_x
      - .offset:         148
        .size:           2
        .value_kind:     hidden_remainder_y
      - .offset:         150
        .size:           2
        .value_kind:     hidden_remainder_z
      - .offset:         168
        .size:           8
        .value_kind:     hidden_global_offset_x
      - .offset:         176
        .size:           8
        .value_kind:     hidden_global_offset_y
      - .offset:         184
        .size:           8
        .value_kind:     hidden_global_offset_z
      - .offset:         192
        .size:           2
        .value_kind:     hidden_grid_dims
    .group_segment_fixed_size: 16384
    .kernarg_segment_align: 8
    .kernarg_segment_size: 384
    .language:       OpenCL C
    .language_version:
      - 2
      - 0
    .max_flat_workgroup_size: 1024
    .name:           _ZL24rocblas_symm_hemm_kernelILb1ELb0ELi32E19rocblas_complex_numIfEPKS1_PS1_EvbiiT2_T3_lllS6_lllT4_llli
    .private_segment_fixed_size: 0
    .sgpr_count:     48
    .sgpr_spill_count: 0
    .symbol:         _ZL24rocblas_symm_hemm_kernelILb1ELb0ELi32E19rocblas_complex_numIfEPKS1_PS1_EvbiiT2_T3_lllS6_lllT4_llli.kd
    .uniform_work_group_size: 1
    .uses_dynamic_stack: false
    .vgpr_count:     39
    .vgpr_spill_count: 0
    .wavefront_size: 64
  - .args:
      - .offset:         0
        .size:           1
        .value_kind:     by_value
      - .offset:         4
        .size:           4
        .value_kind:     by_value
      - .offset:         8
        .size:           4
        .value_kind:     by_value
      - .offset:         12
        .size:           8
        .value_kind:     by_value
      - .address_space:  global
        .offset:         24
        .size:           8
        .value_kind:     global_buffer
      - .offset:         32
        .size:           8
        .value_kind:     by_value
      - .offset:         40
        .size:           8
        .value_kind:     by_value
      - .offset:         48
        .size:           8
        .value_kind:     by_value
      - .address_space:  global
        .offset:         56
        .size:           8
        .value_kind:     global_buffer
      - .offset:         64
        .size:           8
        .value_kind:     by_value
      - .offset:         72
        .size:           8
        .value_kind:     by_value
      - .offset:         80
        .size:           8
        .value_kind:     by_value
      - .address_space:  global
        .offset:         88
        .size:           8
        .value_kind:     global_buffer
      - .offset:         96
        .size:           8
        .value_kind:     by_value
      - .offset:         104
        .size:           8
        .value_kind:     by_value
      - .offset:         112
        .size:           8
        .value_kind:     by_value
      - .offset:         120
        .size:           4
        .value_kind:     by_value
      - .offset:         128
        .size:           4
        .value_kind:     hidden_block_count_x
      - .offset:         132
        .size:           4
        .value_kind:     hidden_block_count_y
      - .offset:         136
        .size:           4
        .value_kind:     hidden_block_count_z
      - .offset:         140
        .size:           2
        .value_kind:     hidden_group_size_x
      - .offset:         142
        .size:           2
        .value_kind:     hidden_group_size_y
      - .offset:         144
        .size:           2
        .value_kind:     hidden_group_size_z
      - .offset:         146
        .size:           2
        .value_kind:     hidden_remainder_x
      - .offset:         148
        .size:           2
        .value_kind:     hidden_remainder_y
      - .offset:         150
        .size:           2
        .value_kind:     hidden_remainder_z
      - .offset:         168
        .size:           8
        .value_kind:     hidden_global_offset_x
      - .offset:         176
        .size:           8
        .value_kind:     hidden_global_offset_y
      - .offset:         184
        .size:           8
        .value_kind:     hidden_global_offset_z
      - .offset:         192
        .size:           2
        .value_kind:     hidden_grid_dims
    .group_segment_fixed_size: 16384
    .kernarg_segment_align: 8
    .kernarg_segment_size: 384
    .language:       OpenCL C
    .language_version:
      - 2
      - 0
    .max_flat_workgroup_size: 1024
    .name:           _ZL24rocblas_symm_hemm_kernelILb1ELb1ELi32E19rocblas_complex_numIfEPKS1_PS1_EvbiiT2_T3_lllS6_lllT4_llli
    .private_segment_fixed_size: 0
    .sgpr_count:     48
    .sgpr_spill_count: 0
    .symbol:         _ZL24rocblas_symm_hemm_kernelILb1ELb1ELi32E19rocblas_complex_numIfEPKS1_PS1_EvbiiT2_T3_lllS6_lllT4_llli.kd
    .uniform_work_group_size: 1
    .uses_dynamic_stack: false
    .vgpr_count:     42
    .vgpr_spill_count: 0
    .wavefront_size: 64
  - .args:
      - .offset:         0
        .size:           1
        .value_kind:     by_value
      - .offset:         4
        .size:           4
        .value_kind:     by_value
      - .offset:         8
        .size:           4
        .value_kind:     by_value
      - .address_space:  global
        .offset:         16
        .size:           8
        .value_kind:     global_buffer
      - .address_space:  global
        .offset:         24
        .size:           8
        .value_kind:     global_buffer
      - .offset:         32
        .size:           8
        .value_kind:     by_value
      - .offset:         40
        .size:           8
        .value_kind:     by_value
      - .offset:         48
        .size:           8
        .value_kind:     by_value
      - .address_space:  global
        .offset:         56
        .size:           8
        .value_kind:     global_buffer
      - .offset:         64
        .size:           8
        .value_kind:     by_value
      - .offset:         72
        .size:           8
        .value_kind:     by_value
      - .offset:         80
        .size:           8
        .value_kind:     by_value
      - .address_space:  global
        .offset:         88
        .size:           8
        .value_kind:     global_buffer
      - .offset:         96
        .size:           8
        .value_kind:     by_value
      - .offset:         104
        .size:           8
        .value_kind:     by_value
      - .offset:         112
        .size:           8
        .value_kind:     by_value
      - .offset:         120
        .size:           4
        .value_kind:     by_value
      - .offset:         128
        .size:           4
        .value_kind:     hidden_block_count_x
      - .offset:         132
        .size:           4
        .value_kind:     hidden_block_count_y
      - .offset:         136
        .size:           4
        .value_kind:     hidden_block_count_z
      - .offset:         140
        .size:           2
        .value_kind:     hidden_group_size_x
      - .offset:         142
        .size:           2
        .value_kind:     hidden_group_size_y
      - .offset:         144
        .size:           2
        .value_kind:     hidden_group_size_z
      - .offset:         146
        .size:           2
        .value_kind:     hidden_remainder_x
      - .offset:         148
        .size:           2
        .value_kind:     hidden_remainder_y
      - .offset:         150
        .size:           2
        .value_kind:     hidden_remainder_z
      - .offset:         168
        .size:           8
        .value_kind:     hidden_global_offset_x
      - .offset:         176
        .size:           8
        .value_kind:     hidden_global_offset_y
      - .offset:         184
        .size:           8
        .value_kind:     hidden_global_offset_z
      - .offset:         192
        .size:           2
        .value_kind:     hidden_grid_dims
    .group_segment_fixed_size: 32768
    .kernarg_segment_align: 8
    .kernarg_segment_size: 384
    .language:       OpenCL C
    .language_version:
      - 2
      - 0
    .max_flat_workgroup_size: 1024
    .name:           _ZL24rocblas_symm_hemm_kernelILb1ELb0ELi32EPK19rocblas_complex_numIdES3_PS1_EvbiiT2_T3_lllS6_lllT4_llli
    .private_segment_fixed_size: 0
    .sgpr_count:     52
    .sgpr_spill_count: 0
    .symbol:         _ZL24rocblas_symm_hemm_kernelILb1ELb0ELi32EPK19rocblas_complex_numIdES3_PS1_EvbiiT2_T3_lllS6_lllT4_llli.kd
    .uniform_work_group_size: 1
    .uses_dynamic_stack: false
    .vgpr_count:     43
    .vgpr_spill_count: 0
    .wavefront_size: 64
  - .args:
      - .offset:         0
        .size:           1
        .value_kind:     by_value
      - .offset:         4
        .size:           4
        .value_kind:     by_value
      - .offset:         8
        .size:           4
        .value_kind:     by_value
      - .address_space:  global
        .offset:         16
        .size:           8
        .value_kind:     global_buffer
      - .address_space:  global
        .offset:         24
        .size:           8
        .value_kind:     global_buffer
      - .offset:         32
        .size:           8
        .value_kind:     by_value
      - .offset:         40
        .size:           8
        .value_kind:     by_value
      - .offset:         48
        .size:           8
        .value_kind:     by_value
      - .address_space:  global
        .offset:         56
        .size:           8
        .value_kind:     global_buffer
      - .offset:         64
        .size:           8
        .value_kind:     by_value
      - .offset:         72
        .size:           8
        .value_kind:     by_value
      - .offset:         80
        .size:           8
        .value_kind:     by_value
      - .address_space:  global
        .offset:         88
        .size:           8
        .value_kind:     global_buffer
      - .offset:         96
        .size:           8
        .value_kind:     by_value
      - .offset:         104
        .size:           8
        .value_kind:     by_value
      - .offset:         112
        .size:           8
        .value_kind:     by_value
      - .offset:         120
        .size:           4
        .value_kind:     by_value
      - .offset:         128
        .size:           4
        .value_kind:     hidden_block_count_x
      - .offset:         132
        .size:           4
        .value_kind:     hidden_block_count_y
      - .offset:         136
        .size:           4
        .value_kind:     hidden_block_count_z
      - .offset:         140
        .size:           2
        .value_kind:     hidden_group_size_x
      - .offset:         142
        .size:           2
        .value_kind:     hidden_group_size_y
      - .offset:         144
        .size:           2
        .value_kind:     hidden_group_size_z
      - .offset:         146
        .size:           2
        .value_kind:     hidden_remainder_x
      - .offset:         148
        .size:           2
        .value_kind:     hidden_remainder_y
      - .offset:         150
        .size:           2
        .value_kind:     hidden_remainder_z
      - .offset:         168
        .size:           8
        .value_kind:     hidden_global_offset_x
      - .offset:         176
        .size:           8
        .value_kind:     hidden_global_offset_y
      - .offset:         184
        .size:           8
        .value_kind:     hidden_global_offset_z
      - .offset:         192
        .size:           2
        .value_kind:     hidden_grid_dims
    .group_segment_fixed_size: 32768
    .kernarg_segment_align: 8
    .kernarg_segment_size: 384
    .language:       OpenCL C
    .language_version:
      - 2
      - 0
    .max_flat_workgroup_size: 1024
    .name:           _ZL24rocblas_symm_hemm_kernelILb1ELb1ELi32EPK19rocblas_complex_numIdES3_PS1_EvbiiT2_T3_lllS6_lllT4_llli
    .private_segment_fixed_size: 0
    .sgpr_count:     52
    .sgpr_spill_count: 0
    .symbol:         _ZL24rocblas_symm_hemm_kernelILb1ELb1ELi32EPK19rocblas_complex_numIdES3_PS1_EvbiiT2_T3_lllS6_lllT4_llli.kd
    .uniform_work_group_size: 1
    .uses_dynamic_stack: false
    .vgpr_count:     43
    .vgpr_spill_count: 0
    .wavefront_size: 64
  - .args:
      - .offset:         0
        .size:           1
        .value_kind:     by_value
      - .offset:         4
        .size:           4
        .value_kind:     by_value
      - .offset:         8
        .size:           4
        .value_kind:     by_value
      - .offset:         16
        .size:           16
        .value_kind:     by_value
      - .address_space:  global
        .offset:         32
        .size:           8
        .value_kind:     global_buffer
      - .offset:         40
        .size:           8
        .value_kind:     by_value
      - .offset:         48
        .size:           8
        .value_kind:     by_value
      - .offset:         56
        .size:           8
        .value_kind:     by_value
      - .address_space:  global
        .offset:         64
        .size:           8
        .value_kind:     global_buffer
      - .offset:         72
        .size:           8
        .value_kind:     by_value
      - .offset:         80
        .size:           8
        .value_kind:     by_value
      - .offset:         88
        .size:           8
        .value_kind:     by_value
      - .address_space:  global
        .offset:         96
        .size:           8
        .value_kind:     global_buffer
      - .offset:         104
        .size:           8
        .value_kind:     by_value
      - .offset:         112
        .size:           8
        .value_kind:     by_value
      - .offset:         120
        .size:           8
        .value_kind:     by_value
      - .offset:         128
        .size:           4
        .value_kind:     by_value
      - .offset:         136
        .size:           4
        .value_kind:     hidden_block_count_x
      - .offset:         140
        .size:           4
        .value_kind:     hidden_block_count_y
      - .offset:         144
        .size:           4
        .value_kind:     hidden_block_count_z
      - .offset:         148
        .size:           2
        .value_kind:     hidden_group_size_x
      - .offset:         150
        .size:           2
        .value_kind:     hidden_group_size_y
      - .offset:         152
        .size:           2
        .value_kind:     hidden_group_size_z
      - .offset:         154
        .size:           2
        .value_kind:     hidden_remainder_x
      - .offset:         156
        .size:           2
        .value_kind:     hidden_remainder_y
      - .offset:         158
        .size:           2
        .value_kind:     hidden_remainder_z
      - .offset:         176
        .size:           8
        .value_kind:     hidden_global_offset_x
      - .offset:         184
        .size:           8
        .value_kind:     hidden_global_offset_y
      - .offset:         192
        .size:           8
        .value_kind:     hidden_global_offset_z
      - .offset:         200
        .size:           2
        .value_kind:     hidden_grid_dims
    .group_segment_fixed_size: 32768
    .kernarg_segment_align: 8
    .kernarg_segment_size: 392
    .language:       OpenCL C
    .language_version:
      - 2
      - 0
    .max_flat_workgroup_size: 1024
    .name:           _ZL24rocblas_symm_hemm_kernelILb1ELb0ELi32E19rocblas_complex_numIdEPKS1_PS1_EvbiiT2_T3_lllS6_lllT4_llli
    .private_segment_fixed_size: 0
    .sgpr_count:     52
    .sgpr_spill_count: 0
    .symbol:         _ZL24rocblas_symm_hemm_kernelILb1ELb0ELi32E19rocblas_complex_numIdEPKS1_PS1_EvbiiT2_T3_lllS6_lllT4_llli.kd
    .uniform_work_group_size: 1
    .uses_dynamic_stack: false
    .vgpr_count:     43
    .vgpr_spill_count: 0
    .wavefront_size: 64
  - .args:
      - .offset:         0
        .size:           1
        .value_kind:     by_value
      - .offset:         4
        .size:           4
        .value_kind:     by_value
      - .offset:         8
        .size:           4
        .value_kind:     by_value
      - .offset:         16
        .size:           16
        .value_kind:     by_value
      - .address_space:  global
        .offset:         32
        .size:           8
        .value_kind:     global_buffer
      - .offset:         40
        .size:           8
        .value_kind:     by_value
      - .offset:         48
        .size:           8
        .value_kind:     by_value
      - .offset:         56
        .size:           8
        .value_kind:     by_value
      - .address_space:  global
        .offset:         64
        .size:           8
        .value_kind:     global_buffer
      - .offset:         72
        .size:           8
        .value_kind:     by_value
      - .offset:         80
        .size:           8
        .value_kind:     by_value
      - .offset:         88
        .size:           8
        .value_kind:     by_value
      - .address_space:  global
        .offset:         96
        .size:           8
        .value_kind:     global_buffer
      - .offset:         104
        .size:           8
        .value_kind:     by_value
      - .offset:         112
        .size:           8
        .value_kind:     by_value
      - .offset:         120
        .size:           8
        .value_kind:     by_value
      - .offset:         128
        .size:           4
        .value_kind:     by_value
      - .offset:         136
        .size:           4
        .value_kind:     hidden_block_count_x
      - .offset:         140
        .size:           4
        .value_kind:     hidden_block_count_y
      - .offset:         144
        .size:           4
        .value_kind:     hidden_block_count_z
      - .offset:         148
        .size:           2
        .value_kind:     hidden_group_size_x
      - .offset:         150
        .size:           2
        .value_kind:     hidden_group_size_y
      - .offset:         152
        .size:           2
        .value_kind:     hidden_group_size_z
      - .offset:         154
        .size:           2
        .value_kind:     hidden_remainder_x
      - .offset:         156
        .size:           2
        .value_kind:     hidden_remainder_y
      - .offset:         158
        .size:           2
        .value_kind:     hidden_remainder_z
      - .offset:         176
        .size:           8
        .value_kind:     hidden_global_offset_x
      - .offset:         184
        .size:           8
        .value_kind:     hidden_global_offset_y
      - .offset:         192
        .size:           8
        .value_kind:     hidden_global_offset_z
      - .offset:         200
        .size:           2
        .value_kind:     hidden_grid_dims
    .group_segment_fixed_size: 32768
    .kernarg_segment_align: 8
    .kernarg_segment_size: 392
    .language:       OpenCL C
    .language_version:
      - 2
      - 0
    .max_flat_workgroup_size: 1024
    .name:           _ZL24rocblas_symm_hemm_kernelILb1ELb1ELi32E19rocblas_complex_numIdEPKS1_PS1_EvbiiT2_T3_lllS6_lllT4_llli
    .private_segment_fixed_size: 0
    .sgpr_count:     48
    .sgpr_spill_count: 0
    .symbol:         _ZL24rocblas_symm_hemm_kernelILb1ELb1ELi32E19rocblas_complex_numIdEPKS1_PS1_EvbiiT2_T3_lllS6_lllT4_llli.kd
    .uniform_work_group_size: 1
    .uses_dynamic_stack: false
    .vgpr_count:     43
    .vgpr_spill_count: 0
    .wavefront_size: 64
  - .args:
      - .offset:         0
        .size:           4
        .value_kind:     by_value
      - .offset:         4
        .size:           4
        .value_kind:     by_value
      - .address_space:  global
        .offset:         8
        .size:           8
        .value_kind:     global_buffer
      - .address_space:  global
        .offset:         16
        .size:           8
        .value_kind:     global_buffer
      - .offset:         24
        .size:           8
        .value_kind:     by_value
      - .offset:         32
        .size:           8
        .value_kind:     by_value
      - .offset:         40
        .size:           8
        .value_kind:     by_value
      - .offset:         48
        .size:           4
        .value_kind:     by_value
      - .offset:         56
        .size:           4
        .value_kind:     hidden_block_count_x
      - .offset:         60
        .size:           4
        .value_kind:     hidden_block_count_y
      - .offset:         64
        .size:           4
        .value_kind:     hidden_block_count_z
      - .offset:         68
        .size:           2
        .value_kind:     hidden_group_size_x
      - .offset:         70
        .size:           2
        .value_kind:     hidden_group_size_y
      - .offset:         72
        .size:           2
        .value_kind:     hidden_group_size_z
      - .offset:         74
        .size:           2
        .value_kind:     hidden_remainder_x
      - .offset:         76
        .size:           2
        .value_kind:     hidden_remainder_y
      - .offset:         78
        .size:           2
        .value_kind:     hidden_remainder_z
      - .offset:         96
        .size:           8
        .value_kind:     hidden_global_offset_x
      - .offset:         104
        .size:           8
        .value_kind:     hidden_global_offset_y
      - .offset:         112
        .size:           8
        .value_kind:     hidden_global_offset_z
      - .offset:         120
        .size:           2
        .value_kind:     hidden_grid_dims
    .group_segment_fixed_size: 0
    .kernarg_segment_align: 8
    .kernarg_segment_size: 312
    .language:       OpenCL C
    .language_version:
      - 2
      - 0
    .max_flat_workgroup_size: 1024
    .name:           _ZL25rocblas_symm_scale_kernelILi128ELi8EPKfPKPfEviiT1_T2_llli
    .private_segment_fixed_size: 0
    .sgpr_count:     24
    .sgpr_spill_count: 0
    .symbol:         _ZL25rocblas_symm_scale_kernelILi128ELi8EPKfPKPfEviiT1_T2_llli.kd
    .uniform_work_group_size: 1
    .uses_dynamic_stack: false
    .vgpr_count:     7
    .vgpr_spill_count: 0
    .wavefront_size: 64
  - .args:
      - .offset:         0
        .size:           1
        .value_kind:     by_value
      - .offset:         4
        .size:           4
        .value_kind:     by_value
      - .offset:         8
        .size:           4
        .value_kind:     by_value
      - .address_space:  global
        .offset:         16
        .size:           8
        .value_kind:     global_buffer
      - .address_space:  global
        .offset:         24
        .size:           8
        .value_kind:     global_buffer
      - .offset:         32
        .size:           8
        .value_kind:     by_value
      - .offset:         40
        .size:           8
        .value_kind:     by_value
      - .offset:         48
        .size:           8
        .value_kind:     by_value
      - .address_space:  global
        .offset:         56
        .size:           8
        .value_kind:     global_buffer
      - .offset:         64
        .size:           8
        .value_kind:     by_value
      - .offset:         72
        .size:           8
        .value_kind:     by_value
      - .offset:         80
        .size:           8
        .value_kind:     by_value
      - .address_space:  global
        .offset:         88
        .size:           8
        .value_kind:     global_buffer
      - .offset:         96
        .size:           8
        .value_kind:     by_value
      - .offset:         104
        .size:           8
        .value_kind:     by_value
      - .offset:         112
        .size:           8
        .value_kind:     by_value
      - .offset:         120
        .size:           4
        .value_kind:     by_value
      - .offset:         128
        .size:           4
        .value_kind:     hidden_block_count_x
      - .offset:         132
        .size:           4
        .value_kind:     hidden_block_count_y
      - .offset:         136
        .size:           4
        .value_kind:     hidden_block_count_z
      - .offset:         140
        .size:           2
        .value_kind:     hidden_group_size_x
      - .offset:         142
        .size:           2
        .value_kind:     hidden_group_size_y
      - .offset:         144
        .size:           2
        .value_kind:     hidden_group_size_z
      - .offset:         146
        .size:           2
        .value_kind:     hidden_remainder_x
      - .offset:         148
        .size:           2
        .value_kind:     hidden_remainder_y
      - .offset:         150
        .size:           2
        .value_kind:     hidden_remainder_z
      - .offset:         168
        .size:           8
        .value_kind:     hidden_global_offset_x
      - .offset:         176
        .size:           8
        .value_kind:     hidden_global_offset_y
      - .offset:         184
        .size:           8
        .value_kind:     hidden_global_offset_z
      - .offset:         192
        .size:           2
        .value_kind:     hidden_grid_dims
    .group_segment_fixed_size: 8192
    .kernarg_segment_align: 8
    .kernarg_segment_size: 384
    .language:       OpenCL C
    .language_version:
      - 2
      - 0
    .max_flat_workgroup_size: 1024
    .name:           _ZL24rocblas_symm_hemm_kernelILb0ELb0ELi32EPKfPKS1_PKPfEvbiiT2_T3_lllS8_lllT4_llli
    .private_segment_fixed_size: 0
    .sgpr_count:     36
    .sgpr_spill_count: 0
    .symbol:         _ZL24rocblas_symm_hemm_kernelILb0ELb0ELi32EPKfPKS1_PKPfEvbiiT2_T3_lllS8_lllT4_llli.kd
    .uniform_work_group_size: 1
    .uses_dynamic_stack: false
    .vgpr_count:     30
    .vgpr_spill_count: 0
    .wavefront_size: 64
  - .args:
      - .offset:         0
        .size:           1
        .value_kind:     by_value
      - .offset:         4
        .size:           4
        .value_kind:     by_value
      - .offset:         8
        .size:           4
        .value_kind:     by_value
      - .address_space:  global
        .offset:         16
        .size:           8
        .value_kind:     global_buffer
      - .address_space:  global
        .offset:         24
        .size:           8
        .value_kind:     global_buffer
      - .offset:         32
        .size:           8
        .value_kind:     by_value
      - .offset:         40
        .size:           8
        .value_kind:     by_value
      - .offset:         48
        .size:           8
        .value_kind:     by_value
      - .address_space:  global
        .offset:         56
        .size:           8
        .value_kind:     global_buffer
      - .offset:         64
        .size:           8
        .value_kind:     by_value
      - .offset:         72
        .size:           8
        .value_kind:     by_value
      - .offset:         80
        .size:           8
        .value_kind:     by_value
      - .address_space:  global
        .offset:         88
        .size:           8
        .value_kind:     global_buffer
      - .offset:         96
        .size:           8
        .value_kind:     by_value
      - .offset:         104
        .size:           8
        .value_kind:     by_value
      - .offset:         112
        .size:           8
        .value_kind:     by_value
      - .offset:         120
        .size:           4
        .value_kind:     by_value
      - .offset:         128
        .size:           4
        .value_kind:     hidden_block_count_x
      - .offset:         132
        .size:           4
        .value_kind:     hidden_block_count_y
      - .offset:         136
        .size:           4
        .value_kind:     hidden_block_count_z
      - .offset:         140
        .size:           2
        .value_kind:     hidden_group_size_x
      - .offset:         142
        .size:           2
        .value_kind:     hidden_group_size_y
      - .offset:         144
        .size:           2
        .value_kind:     hidden_group_size_z
      - .offset:         146
        .size:           2
        .value_kind:     hidden_remainder_x
      - .offset:         148
        .size:           2
        .value_kind:     hidden_remainder_y
      - .offset:         150
        .size:           2
        .value_kind:     hidden_remainder_z
      - .offset:         168
        .size:           8
        .value_kind:     hidden_global_offset_x
      - .offset:         176
        .size:           8
        .value_kind:     hidden_global_offset_y
      - .offset:         184
        .size:           8
        .value_kind:     hidden_global_offset_z
      - .offset:         192
        .size:           2
        .value_kind:     hidden_grid_dims
    .group_segment_fixed_size: 8192
    .kernarg_segment_align: 8
    .kernarg_segment_size: 384
    .language:       OpenCL C
    .language_version:
      - 2
      - 0
    .max_flat_workgroup_size: 1024
    .name:           _ZL24rocblas_symm_hemm_kernelILb0ELb1ELi32EPKfPKS1_PKPfEvbiiT2_T3_lllS8_lllT4_llli
    .private_segment_fixed_size: 0
    .sgpr_count:     36
    .sgpr_spill_count: 0
    .symbol:         _ZL24rocblas_symm_hemm_kernelILb0ELb1ELi32EPKfPKS1_PKPfEvbiiT2_T3_lllS8_lllT4_llli.kd
    .uniform_work_group_size: 1
    .uses_dynamic_stack: false
    .vgpr_count:     30
    .vgpr_spill_count: 0
    .wavefront_size: 64
  - .args:
      - .offset:         0
        .size:           4
        .value_kind:     by_value
      - .offset:         4
        .size:           4
        .value_kind:     by_value
      - .offset:         8
        .size:           4
        .value_kind:     by_value
      - .address_space:  global
        .offset:         16
        .size:           8
        .value_kind:     global_buffer
      - .offset:         24
        .size:           8
        .value_kind:     by_value
      - .offset:         32
        .size:           8
        .value_kind:     by_value
      - .offset:         40
        .size:           8
        .value_kind:     by_value
      - .offset:         48
        .size:           4
        .value_kind:     by_value
      - .offset:         56
        .size:           4
        .value_kind:     hidden_block_count_x
      - .offset:         60
        .size:           4
        .value_kind:     hidden_block_count_y
      - .offset:         64
        .size:           4
        .value_kind:     hidden_block_count_z
      - .offset:         68
        .size:           2
        .value_kind:     hidden_group_size_x
      - .offset:         70
        .size:           2
        .value_kind:     hidden_group_size_y
      - .offset:         72
        .size:           2
        .value_kind:     hidden_group_size_z
      - .offset:         74
        .size:           2
        .value_kind:     hidden_remainder_x
      - .offset:         76
        .size:           2
        .value_kind:     hidden_remainder_y
      - .offset:         78
        .size:           2
        .value_kind:     hidden_remainder_z
      - .offset:         96
        .size:           8
        .value_kind:     hidden_global_offset_x
      - .offset:         104
        .size:           8
        .value_kind:     hidden_global_offset_y
      - .offset:         112
        .size:           8
        .value_kind:     hidden_global_offset_z
      - .offset:         120
        .size:           2
        .value_kind:     hidden_grid_dims
    .group_segment_fixed_size: 0
    .kernarg_segment_align: 8
    .kernarg_segment_size: 312
    .language:       OpenCL C
    .language_version:
      - 2
      - 0
    .max_flat_workgroup_size: 1024
    .name:           _ZL25rocblas_symm_scale_kernelILi128ELi8EfPKPfEviiT1_T2_llli
    .private_segment_fixed_size: 0
    .sgpr_count:     20
    .sgpr_spill_count: 0
    .symbol:         _ZL25rocblas_symm_scale_kernelILi128ELi8EfPKPfEviiT1_T2_llli.kd
    .uniform_work_group_size: 1
    .uses_dynamic_stack: false
    .vgpr_count:     7
    .vgpr_spill_count: 0
    .wavefront_size: 64
  - .args:
      - .offset:         0
        .size:           1
        .value_kind:     by_value
      - .offset:         4
        .size:           4
        .value_kind:     by_value
      - .offset:         8
        .size:           4
        .value_kind:     by_value
      - .offset:         12
        .size:           4
        .value_kind:     by_value
      - .address_space:  global
        .offset:         16
        .size:           8
        .value_kind:     global_buffer
      - .offset:         24
        .size:           8
        .value_kind:     by_value
      - .offset:         32
        .size:           8
        .value_kind:     by_value
      - .offset:         40
        .size:           8
        .value_kind:     by_value
      - .address_space:  global
        .offset:         48
        .size:           8
        .value_kind:     global_buffer
      - .offset:         56
        .size:           8
        .value_kind:     by_value
      - .offset:         64
        .size:           8
        .value_kind:     by_value
      - .offset:         72
        .size:           8
        .value_kind:     by_value
      - .address_space:  global
        .offset:         80
        .size:           8
        .value_kind:     global_buffer
      - .offset:         88
        .size:           8
        .value_kind:     by_value
      - .offset:         96
        .size:           8
        .value_kind:     by_value
      - .offset:         104
        .size:           8
        .value_kind:     by_value
      - .offset:         112
        .size:           4
        .value_kind:     by_value
      - .offset:         120
        .size:           4
        .value_kind:     hidden_block_count_x
      - .offset:         124
        .size:           4
        .value_kind:     hidden_block_count_y
      - .offset:         128
        .size:           4
        .value_kind:     hidden_block_count_z
      - .offset:         132
        .size:           2
        .value_kind:     hidden_group_size_x
      - .offset:         134
        .size:           2
        .value_kind:     hidden_group_size_y
      - .offset:         136
        .size:           2
        .value_kind:     hidden_group_size_z
      - .offset:         138
        .size:           2
        .value_kind:     hidden_remainder_x
      - .offset:         140
        .size:           2
        .value_kind:     hidden_remainder_y
      - .offset:         142
        .size:           2
        .value_kind:     hidden_remainder_z
      - .offset:         160
        .size:           8
        .value_kind:     hidden_global_offset_x
      - .offset:         168
        .size:           8
        .value_kind:     hidden_global_offset_y
      - .offset:         176
        .size:           8
        .value_kind:     hidden_global_offset_z
      - .offset:         184
        .size:           2
        .value_kind:     hidden_grid_dims
    .group_segment_fixed_size: 8192
    .kernarg_segment_align: 8
    .kernarg_segment_size: 376
    .language:       OpenCL C
    .language_version:
      - 2
      - 0
    .max_flat_workgroup_size: 1024
    .name:           _ZL24rocblas_symm_hemm_kernelILb0ELb0ELi32EfPKPKfPKPfEvbiiT2_T3_lllS8_lllT4_llli
    .private_segment_fixed_size: 0
    .sgpr_count:     36
    .sgpr_spill_count: 0
    .symbol:         _ZL24rocblas_symm_hemm_kernelILb0ELb0ELi32EfPKPKfPKPfEvbiiT2_T3_lllS8_lllT4_llli.kd
    .uniform_work_group_size: 1
    .uses_dynamic_stack: false
    .vgpr_count:     30
    .vgpr_spill_count: 0
    .wavefront_size: 64
  - .args:
      - .offset:         0
        .size:           1
        .value_kind:     by_value
      - .offset:         4
        .size:           4
        .value_kind:     by_value
      - .offset:         8
        .size:           4
        .value_kind:     by_value
      - .offset:         12
        .size:           4
        .value_kind:     by_value
      - .address_space:  global
        .offset:         16
        .size:           8
        .value_kind:     global_buffer
      - .offset:         24
        .size:           8
        .value_kind:     by_value
      - .offset:         32
        .size:           8
        .value_kind:     by_value
      - .offset:         40
        .size:           8
        .value_kind:     by_value
      - .address_space:  global
        .offset:         48
        .size:           8
        .value_kind:     global_buffer
      - .offset:         56
        .size:           8
        .value_kind:     by_value
      - .offset:         64
        .size:           8
        .value_kind:     by_value
      - .offset:         72
        .size:           8
        .value_kind:     by_value
      - .address_space:  global
        .offset:         80
        .size:           8
        .value_kind:     global_buffer
      - .offset:         88
        .size:           8
        .value_kind:     by_value
      - .offset:         96
        .size:           8
        .value_kind:     by_value
      - .offset:         104
        .size:           8
        .value_kind:     by_value
      - .offset:         112
        .size:           4
        .value_kind:     by_value
      - .offset:         120
        .size:           4
        .value_kind:     hidden_block_count_x
      - .offset:         124
        .size:           4
        .value_kind:     hidden_block_count_y
      - .offset:         128
        .size:           4
        .value_kind:     hidden_block_count_z
      - .offset:         132
        .size:           2
        .value_kind:     hidden_group_size_x
      - .offset:         134
        .size:           2
        .value_kind:     hidden_group_size_y
      - .offset:         136
        .size:           2
        .value_kind:     hidden_group_size_z
      - .offset:         138
        .size:           2
        .value_kind:     hidden_remainder_x
      - .offset:         140
        .size:           2
        .value_kind:     hidden_remainder_y
      - .offset:         142
        .size:           2
        .value_kind:     hidden_remainder_z
      - .offset:         160
        .size:           8
        .value_kind:     hidden_global_offset_x
      - .offset:         168
        .size:           8
        .value_kind:     hidden_global_offset_y
      - .offset:         176
        .size:           8
        .value_kind:     hidden_global_offset_z
      - .offset:         184
        .size:           2
        .value_kind:     hidden_grid_dims
    .group_segment_fixed_size: 8192
    .kernarg_segment_align: 8
    .kernarg_segment_size: 376
    .language:       OpenCL C
    .language_version:
      - 2
      - 0
    .max_flat_workgroup_size: 1024
    .name:           _ZL24rocblas_symm_hemm_kernelILb0ELb1ELi32EfPKPKfPKPfEvbiiT2_T3_lllS8_lllT4_llli
    .private_segment_fixed_size: 0
    .sgpr_count:     36
    .sgpr_spill_count: 0
    .symbol:         _ZL24rocblas_symm_hemm_kernelILb0ELb1ELi32EfPKPKfPKPfEvbiiT2_T3_lllS8_lllT4_llli.kd
    .uniform_work_group_size: 1
    .uses_dynamic_stack: false
    .vgpr_count:     30
    .vgpr_spill_count: 0
    .wavefront_size: 64
  - .args:
      - .offset:         0
        .size:           4
        .value_kind:     by_value
      - .offset:         4
        .size:           4
        .value_kind:     by_value
      - .address_space:  global
        .offset:         8
        .size:           8
        .value_kind:     global_buffer
      - .address_space:  global
        .offset:         16
        .size:           8
        .value_kind:     global_buffer
      - .offset:         24
        .size:           8
        .value_kind:     by_value
      - .offset:         32
        .size:           8
        .value_kind:     by_value
      - .offset:         40
        .size:           8
        .value_kind:     by_value
      - .offset:         48
        .size:           4
        .value_kind:     by_value
      - .offset:         56
        .size:           4
        .value_kind:     hidden_block_count_x
      - .offset:         60
        .size:           4
        .value_kind:     hidden_block_count_y
      - .offset:         64
        .size:           4
        .value_kind:     hidden_block_count_z
      - .offset:         68
        .size:           2
        .value_kind:     hidden_group_size_x
      - .offset:         70
        .size:           2
        .value_kind:     hidden_group_size_y
      - .offset:         72
        .size:           2
        .value_kind:     hidden_group_size_z
      - .offset:         74
        .size:           2
        .value_kind:     hidden_remainder_x
      - .offset:         76
        .size:           2
        .value_kind:     hidden_remainder_y
      - .offset:         78
        .size:           2
        .value_kind:     hidden_remainder_z
      - .offset:         96
        .size:           8
        .value_kind:     hidden_global_offset_x
      - .offset:         104
        .size:           8
        .value_kind:     hidden_global_offset_y
      - .offset:         112
        .size:           8
        .value_kind:     hidden_global_offset_z
      - .offset:         120
        .size:           2
        .value_kind:     hidden_grid_dims
    .group_segment_fixed_size: 0
    .kernarg_segment_align: 8
    .kernarg_segment_size: 312
    .language:       OpenCL C
    .language_version:
      - 2
      - 0
    .max_flat_workgroup_size: 1024
    .name:           _ZL25rocblas_symm_scale_kernelILi128ELi8EPKdPKPdEviiT1_T2_llli
    .private_segment_fixed_size: 0
    .sgpr_count:     24
    .sgpr_spill_count: 0
    .symbol:         _ZL25rocblas_symm_scale_kernelILi128ELi8EPKdPKPdEviiT1_T2_llli.kd
    .uniform_work_group_size: 1
    .uses_dynamic_stack: false
    .vgpr_count:     7
    .vgpr_spill_count: 0
    .wavefront_size: 64
  - .args:
      - .offset:         0
        .size:           1
        .value_kind:     by_value
      - .offset:         4
        .size:           4
        .value_kind:     by_value
      - .offset:         8
        .size:           4
        .value_kind:     by_value
      - .address_space:  global
        .offset:         16
        .size:           8
        .value_kind:     global_buffer
      - .address_space:  global
        .offset:         24
        .size:           8
        .value_kind:     global_buffer
      - .offset:         32
        .size:           8
        .value_kind:     by_value
      - .offset:         40
        .size:           8
        .value_kind:     by_value
      - .offset:         48
        .size:           8
        .value_kind:     by_value
      - .address_space:  global
        .offset:         56
        .size:           8
        .value_kind:     global_buffer
      - .offset:         64
        .size:           8
        .value_kind:     by_value
      - .offset:         72
        .size:           8
        .value_kind:     by_value
      - .offset:         80
        .size:           8
        .value_kind:     by_value
      - .address_space:  global
        .offset:         88
        .size:           8
        .value_kind:     global_buffer
      - .offset:         96
        .size:           8
        .value_kind:     by_value
      - .offset:         104
        .size:           8
        .value_kind:     by_value
      - .offset:         112
        .size:           8
        .value_kind:     by_value
      - .offset:         120
        .size:           4
        .value_kind:     by_value
      - .offset:         128
        .size:           4
        .value_kind:     hidden_block_count_x
      - .offset:         132
        .size:           4
        .value_kind:     hidden_block_count_y
      - .offset:         136
        .size:           4
        .value_kind:     hidden_block_count_z
      - .offset:         140
        .size:           2
        .value_kind:     hidden_group_size_x
      - .offset:         142
        .size:           2
        .value_kind:     hidden_group_size_y
      - .offset:         144
        .size:           2
        .value_kind:     hidden_group_size_z
      - .offset:         146
        .size:           2
        .value_kind:     hidden_remainder_x
      - .offset:         148
        .size:           2
        .value_kind:     hidden_remainder_y
      - .offset:         150
        .size:           2
        .value_kind:     hidden_remainder_z
      - .offset:         168
        .size:           8
        .value_kind:     hidden_global_offset_x
      - .offset:         176
        .size:           8
        .value_kind:     hidden_global_offset_y
      - .offset:         184
        .size:           8
        .value_kind:     hidden_global_offset_z
      - .offset:         192
        .size:           2
        .value_kind:     hidden_grid_dims
    .group_segment_fixed_size: 16384
    .kernarg_segment_align: 8
    .kernarg_segment_size: 384
    .language:       OpenCL C
    .language_version:
      - 2
      - 0
    .max_flat_workgroup_size: 1024
    .name:           _ZL24rocblas_symm_hemm_kernelILb0ELb0ELi32EPKdPKS1_PKPdEvbiiT2_T3_lllS8_lllT4_llli
    .private_segment_fixed_size: 0
    .sgpr_count:     44
    .sgpr_spill_count: 0
    .symbol:         _ZL24rocblas_symm_hemm_kernelILb0ELb0ELi32EPKdPKS1_PKPdEvbiiT2_T3_lllS8_lllT4_llli.kd
    .uniform_work_group_size: 1
    .uses_dynamic_stack: false
    .vgpr_count:     29
    .vgpr_spill_count: 0
    .wavefront_size: 64
  - .args:
      - .offset:         0
        .size:           1
        .value_kind:     by_value
      - .offset:         4
        .size:           4
        .value_kind:     by_value
      - .offset:         8
        .size:           4
        .value_kind:     by_value
      - .address_space:  global
        .offset:         16
        .size:           8
        .value_kind:     global_buffer
      - .address_space:  global
        .offset:         24
        .size:           8
        .value_kind:     global_buffer
      - .offset:         32
        .size:           8
        .value_kind:     by_value
      - .offset:         40
        .size:           8
        .value_kind:     by_value
      - .offset:         48
        .size:           8
        .value_kind:     by_value
      - .address_space:  global
        .offset:         56
        .size:           8
        .value_kind:     global_buffer
      - .offset:         64
        .size:           8
        .value_kind:     by_value
      - .offset:         72
        .size:           8
        .value_kind:     by_value
      - .offset:         80
        .size:           8
        .value_kind:     by_value
      - .address_space:  global
        .offset:         88
        .size:           8
        .value_kind:     global_buffer
      - .offset:         96
        .size:           8
        .value_kind:     by_value
      - .offset:         104
        .size:           8
        .value_kind:     by_value
      - .offset:         112
        .size:           8
        .value_kind:     by_value
      - .offset:         120
        .size:           4
        .value_kind:     by_value
      - .offset:         128
        .size:           4
        .value_kind:     hidden_block_count_x
      - .offset:         132
        .size:           4
        .value_kind:     hidden_block_count_y
      - .offset:         136
        .size:           4
        .value_kind:     hidden_block_count_z
      - .offset:         140
        .size:           2
        .value_kind:     hidden_group_size_x
      - .offset:         142
        .size:           2
        .value_kind:     hidden_group_size_y
      - .offset:         144
        .size:           2
        .value_kind:     hidden_group_size_z
      - .offset:         146
        .size:           2
        .value_kind:     hidden_remainder_x
      - .offset:         148
        .size:           2
        .value_kind:     hidden_remainder_y
      - .offset:         150
        .size:           2
        .value_kind:     hidden_remainder_z
      - .offset:         168
        .size:           8
        .value_kind:     hidden_global_offset_x
      - .offset:         176
        .size:           8
        .value_kind:     hidden_global_offset_y
      - .offset:         184
        .size:           8
        .value_kind:     hidden_global_offset_z
      - .offset:         192
        .size:           2
        .value_kind:     hidden_grid_dims
    .group_segment_fixed_size: 16384
    .kernarg_segment_align: 8
    .kernarg_segment_size: 384
    .language:       OpenCL C
    .language_version:
      - 2
      - 0
    .max_flat_workgroup_size: 1024
    .name:           _ZL24rocblas_symm_hemm_kernelILb0ELb1ELi32EPKdPKS1_PKPdEvbiiT2_T3_lllS8_lllT4_llli
    .private_segment_fixed_size: 0
    .sgpr_count:     36
    .sgpr_spill_count: 0
    .symbol:         _ZL24rocblas_symm_hemm_kernelILb0ELb1ELi32EPKdPKS1_PKPdEvbiiT2_T3_lllS8_lllT4_llli.kd
    .uniform_work_group_size: 1
    .uses_dynamic_stack: false
    .vgpr_count:     28
    .vgpr_spill_count: 0
    .wavefront_size: 64
  - .args:
      - .offset:         0
        .size:           4
        .value_kind:     by_value
      - .offset:         4
        .size:           4
        .value_kind:     by_value
      - .offset:         8
        .size:           8
        .value_kind:     by_value
      - .address_space:  global
        .offset:         16
        .size:           8
        .value_kind:     global_buffer
      - .offset:         24
        .size:           8
        .value_kind:     by_value
      - .offset:         32
        .size:           8
        .value_kind:     by_value
      - .offset:         40
        .size:           8
        .value_kind:     by_value
      - .offset:         48
        .size:           4
        .value_kind:     by_value
      - .offset:         56
        .size:           4
        .value_kind:     hidden_block_count_x
      - .offset:         60
        .size:           4
        .value_kind:     hidden_block_count_y
      - .offset:         64
        .size:           4
        .value_kind:     hidden_block_count_z
      - .offset:         68
        .size:           2
        .value_kind:     hidden_group_size_x
      - .offset:         70
        .size:           2
        .value_kind:     hidden_group_size_y
      - .offset:         72
        .size:           2
        .value_kind:     hidden_group_size_z
      - .offset:         74
        .size:           2
        .value_kind:     hidden_remainder_x
      - .offset:         76
        .size:           2
        .value_kind:     hidden_remainder_y
      - .offset:         78
        .size:           2
        .value_kind:     hidden_remainder_z
      - .offset:         96
        .size:           8
        .value_kind:     hidden_global_offset_x
      - .offset:         104
        .size:           8
        .value_kind:     hidden_global_offset_y
      - .offset:         112
        .size:           8
        .value_kind:     hidden_global_offset_z
      - .offset:         120
        .size:           2
        .value_kind:     hidden_grid_dims
    .group_segment_fixed_size: 0
    .kernarg_segment_align: 8
    .kernarg_segment_size: 312
    .language:       OpenCL C
    .language_version:
      - 2
      - 0
    .max_flat_workgroup_size: 1024
    .name:           _ZL25rocblas_symm_scale_kernelILi128ELi8EdPKPdEviiT1_T2_llli
    .private_segment_fixed_size: 0
    .sgpr_count:     24
    .sgpr_spill_count: 0
    .symbol:         _ZL25rocblas_symm_scale_kernelILi128ELi8EdPKPdEviiT1_T2_llli.kd
    .uniform_work_group_size: 1
    .uses_dynamic_stack: false
    .vgpr_count:     7
    .vgpr_spill_count: 0
    .wavefront_size: 64
  - .args:
      - .offset:         0
        .size:           1
        .value_kind:     by_value
      - .offset:         4
        .size:           4
        .value_kind:     by_value
      - .offset:         8
        .size:           4
        .value_kind:     by_value
      - .offset:         16
        .size:           8
        .value_kind:     by_value
      - .address_space:  global
        .offset:         24
        .size:           8
        .value_kind:     global_buffer
      - .offset:         32
        .size:           8
        .value_kind:     by_value
      - .offset:         40
        .size:           8
        .value_kind:     by_value
      - .offset:         48
        .size:           8
        .value_kind:     by_value
      - .address_space:  global
        .offset:         56
        .size:           8
        .value_kind:     global_buffer
      - .offset:         64
        .size:           8
        .value_kind:     by_value
      - .offset:         72
        .size:           8
        .value_kind:     by_value
      - .offset:         80
        .size:           8
        .value_kind:     by_value
      - .address_space:  global
        .offset:         88
        .size:           8
        .value_kind:     global_buffer
      - .offset:         96
        .size:           8
        .value_kind:     by_value
      - .offset:         104
        .size:           8
        .value_kind:     by_value
      - .offset:         112
        .size:           8
        .value_kind:     by_value
      - .offset:         120
        .size:           4
        .value_kind:     by_value
      - .offset:         128
        .size:           4
        .value_kind:     hidden_block_count_x
      - .offset:         132
        .size:           4
        .value_kind:     hidden_block_count_y
      - .offset:         136
        .size:           4
        .value_kind:     hidden_block_count_z
      - .offset:         140
        .size:           2
        .value_kind:     hidden_group_size_x
      - .offset:         142
        .size:           2
        .value_kind:     hidden_group_size_y
      - .offset:         144
        .size:           2
        .value_kind:     hidden_group_size_z
      - .offset:         146
        .size:           2
        .value_kind:     hidden_remainder_x
      - .offset:         148
        .size:           2
        .value_kind:     hidden_remainder_y
      - .offset:         150
        .size:           2
        .value_kind:     hidden_remainder_z
      - .offset:         168
        .size:           8
        .value_kind:     hidden_global_offset_x
      - .offset:         176
        .size:           8
        .value_kind:     hidden_global_offset_y
      - .offset:         184
        .size:           8
        .value_kind:     hidden_global_offset_z
      - .offset:         192
        .size:           2
        .value_kind:     hidden_grid_dims
    .group_segment_fixed_size: 16384
    .kernarg_segment_align: 8
    .kernarg_segment_size: 384
    .language:       OpenCL C
    .language_version:
      - 2
      - 0
    .max_flat_workgroup_size: 1024
    .name:           _ZL24rocblas_symm_hemm_kernelILb0ELb0ELi32EdPKPKdPKPdEvbiiT2_T3_lllS8_lllT4_llli
    .private_segment_fixed_size: 0
    .sgpr_count:     44
    .sgpr_spill_count: 0
    .symbol:         _ZL24rocblas_symm_hemm_kernelILb0ELb0ELi32EdPKPKdPKPdEvbiiT2_T3_lllS8_lllT4_llli.kd
    .uniform_work_group_size: 1
    .uses_dynamic_stack: false
    .vgpr_count:     29
    .vgpr_spill_count: 0
    .wavefront_size: 64
  - .args:
      - .offset:         0
        .size:           1
        .value_kind:     by_value
      - .offset:         4
        .size:           4
        .value_kind:     by_value
      - .offset:         8
        .size:           4
        .value_kind:     by_value
      - .offset:         16
        .size:           8
        .value_kind:     by_value
      - .address_space:  global
        .offset:         24
        .size:           8
        .value_kind:     global_buffer
      - .offset:         32
        .size:           8
        .value_kind:     by_value
      - .offset:         40
        .size:           8
        .value_kind:     by_value
      - .offset:         48
        .size:           8
        .value_kind:     by_value
      - .address_space:  global
        .offset:         56
        .size:           8
        .value_kind:     global_buffer
      - .offset:         64
        .size:           8
        .value_kind:     by_value
      - .offset:         72
        .size:           8
        .value_kind:     by_value
      - .offset:         80
        .size:           8
        .value_kind:     by_value
      - .address_space:  global
        .offset:         88
        .size:           8
        .value_kind:     global_buffer
      - .offset:         96
        .size:           8
        .value_kind:     by_value
      - .offset:         104
        .size:           8
        .value_kind:     by_value
      - .offset:         112
        .size:           8
        .value_kind:     by_value
      - .offset:         120
        .size:           4
        .value_kind:     by_value
      - .offset:         128
        .size:           4
        .value_kind:     hidden_block_count_x
      - .offset:         132
        .size:           4
        .value_kind:     hidden_block_count_y
      - .offset:         136
        .size:           4
        .value_kind:     hidden_block_count_z
      - .offset:         140
        .size:           2
        .value_kind:     hidden_group_size_x
      - .offset:         142
        .size:           2
        .value_kind:     hidden_group_size_y
      - .offset:         144
        .size:           2
        .value_kind:     hidden_group_size_z
      - .offset:         146
        .size:           2
        .value_kind:     hidden_remainder_x
      - .offset:         148
        .size:           2
        .value_kind:     hidden_remainder_y
      - .offset:         150
        .size:           2
        .value_kind:     hidden_remainder_z
      - .offset:         168
        .size:           8
        .value_kind:     hidden_global_offset_x
      - .offset:         176
        .size:           8
        .value_kind:     hidden_global_offset_y
      - .offset:         184
        .size:           8
        .value_kind:     hidden_global_offset_z
      - .offset:         192
        .size:           2
        .value_kind:     hidden_grid_dims
    .group_segment_fixed_size: 16384
    .kernarg_segment_align: 8
    .kernarg_segment_size: 384
    .language:       OpenCL C
    .language_version:
      - 2
      - 0
    .max_flat_workgroup_size: 1024
    .name:           _ZL24rocblas_symm_hemm_kernelILb0ELb1ELi32EdPKPKdPKPdEvbiiT2_T3_lllS8_lllT4_llli
    .private_segment_fixed_size: 0
    .sgpr_count:     36
    .sgpr_spill_count: 0
    .symbol:         _ZL24rocblas_symm_hemm_kernelILb0ELb1ELi32EdPKPKdPKPdEvbiiT2_T3_lllS8_lllT4_llli.kd
    .uniform_work_group_size: 1
    .uses_dynamic_stack: false
    .vgpr_count:     28
    .vgpr_spill_count: 0
    .wavefront_size: 64
  - .args:
      - .offset:         0
        .size:           4
        .value_kind:     by_value
      - .offset:         4
        .size:           4
        .value_kind:     by_value
      - .address_space:  global
        .offset:         8
        .size:           8
        .value_kind:     global_buffer
      - .address_space:  global
        .offset:         16
        .size:           8
        .value_kind:     global_buffer
      - .offset:         24
        .size:           8
        .value_kind:     by_value
      - .offset:         32
        .size:           8
        .value_kind:     by_value
      - .offset:         40
        .size:           8
        .value_kind:     by_value
      - .offset:         48
        .size:           4
        .value_kind:     by_value
      - .offset:         56
        .size:           4
        .value_kind:     hidden_block_count_x
      - .offset:         60
        .size:           4
        .value_kind:     hidden_block_count_y
      - .offset:         64
        .size:           4
        .value_kind:     hidden_block_count_z
      - .offset:         68
        .size:           2
        .value_kind:     hidden_group_size_x
      - .offset:         70
        .size:           2
        .value_kind:     hidden_group_size_y
      - .offset:         72
        .size:           2
        .value_kind:     hidden_group_size_z
      - .offset:         74
        .size:           2
        .value_kind:     hidden_remainder_x
      - .offset:         76
        .size:           2
        .value_kind:     hidden_remainder_y
      - .offset:         78
        .size:           2
        .value_kind:     hidden_remainder_z
      - .offset:         96
        .size:           8
        .value_kind:     hidden_global_offset_x
      - .offset:         104
        .size:           8
        .value_kind:     hidden_global_offset_y
      - .offset:         112
        .size:           8
        .value_kind:     hidden_global_offset_z
      - .offset:         120
        .size:           2
        .value_kind:     hidden_grid_dims
    .group_segment_fixed_size: 0
    .kernarg_segment_align: 8
    .kernarg_segment_size: 312
    .language:       OpenCL C
    .language_version:
      - 2
      - 0
    .max_flat_workgroup_size: 1024
    .name:           _ZL25rocblas_symm_scale_kernelILi128ELi8EPK19rocblas_complex_numIfEPKPS1_EviiT1_T2_llli
    .private_segment_fixed_size: 0
    .sgpr_count:     24
    .sgpr_spill_count: 0
    .symbol:         _ZL25rocblas_symm_scale_kernelILi128ELi8EPK19rocblas_complex_numIfEPKPS1_EviiT1_T2_llli.kd
    .uniform_work_group_size: 1
    .uses_dynamic_stack: false
    .vgpr_count:     9
    .vgpr_spill_count: 0
    .wavefront_size: 64
  - .args:
      - .offset:         0
        .size:           1
        .value_kind:     by_value
      - .offset:         4
        .size:           4
        .value_kind:     by_value
      - .offset:         8
        .size:           4
        .value_kind:     by_value
      - .address_space:  global
        .offset:         16
        .size:           8
        .value_kind:     global_buffer
      - .address_space:  global
        .offset:         24
        .size:           8
        .value_kind:     global_buffer
      - .offset:         32
        .size:           8
        .value_kind:     by_value
      - .offset:         40
        .size:           8
        .value_kind:     by_value
      - .offset:         48
        .size:           8
        .value_kind:     by_value
      - .address_space:  global
        .offset:         56
        .size:           8
        .value_kind:     global_buffer
      - .offset:         64
        .size:           8
        .value_kind:     by_value
      - .offset:         72
        .size:           8
        .value_kind:     by_value
      - .offset:         80
        .size:           8
        .value_kind:     by_value
      - .address_space:  global
        .offset:         88
        .size:           8
        .value_kind:     global_buffer
      - .offset:         96
        .size:           8
        .value_kind:     by_value
      - .offset:         104
        .size:           8
        .value_kind:     by_value
      - .offset:         112
        .size:           8
        .value_kind:     by_value
      - .offset:         120
        .size:           4
        .value_kind:     by_value
      - .offset:         128
        .size:           4
        .value_kind:     hidden_block_count_x
      - .offset:         132
        .size:           4
        .value_kind:     hidden_block_count_y
      - .offset:         136
        .size:           4
        .value_kind:     hidden_block_count_z
      - .offset:         140
        .size:           2
        .value_kind:     hidden_group_size_x
      - .offset:         142
        .size:           2
        .value_kind:     hidden_group_size_y
      - .offset:         144
        .size:           2
        .value_kind:     hidden_group_size_z
      - .offset:         146
        .size:           2
        .value_kind:     hidden_remainder_x
      - .offset:         148
        .size:           2
        .value_kind:     hidden_remainder_y
      - .offset:         150
        .size:           2
        .value_kind:     hidden_remainder_z
      - .offset:         168
        .size:           8
        .value_kind:     hidden_global_offset_x
      - .offset:         176
        .size:           8
        .value_kind:     hidden_global_offset_y
      - .offset:         184
        .size:           8
        .value_kind:     hidden_global_offset_z
      - .offset:         192
        .size:           2
        .value_kind:     hidden_grid_dims
    .group_segment_fixed_size: 16384
    .kernarg_segment_align: 8
    .kernarg_segment_size: 384
    .language:       OpenCL C
    .language_version:
      - 2
      - 0
    .max_flat_workgroup_size: 1024
    .name:           _ZL24rocblas_symm_hemm_kernelILb0ELb0ELi32EPK19rocblas_complex_numIfEPKS3_PKPS1_EvbiiT2_T3_lllSA_lllT4_llli
    .private_segment_fixed_size: 0
    .sgpr_count:     44
    .sgpr_spill_count: 0
    .symbol:         _ZL24rocblas_symm_hemm_kernelILb0ELb0ELi32EPK19rocblas_complex_numIfEPKS3_PKPS1_EvbiiT2_T3_lllSA_lllT4_llli.kd
    .uniform_work_group_size: 1
    .uses_dynamic_stack: false
    .vgpr_count:     37
    .vgpr_spill_count: 0
    .wavefront_size: 64
  - .args:
      - .offset:         0
        .size:           1
        .value_kind:     by_value
      - .offset:         4
        .size:           4
        .value_kind:     by_value
      - .offset:         8
        .size:           4
        .value_kind:     by_value
      - .address_space:  global
        .offset:         16
        .size:           8
        .value_kind:     global_buffer
      - .address_space:  global
        .offset:         24
        .size:           8
        .value_kind:     global_buffer
      - .offset:         32
        .size:           8
        .value_kind:     by_value
      - .offset:         40
        .size:           8
        .value_kind:     by_value
      - .offset:         48
        .size:           8
        .value_kind:     by_value
      - .address_space:  global
        .offset:         56
        .size:           8
        .value_kind:     global_buffer
      - .offset:         64
        .size:           8
        .value_kind:     by_value
      - .offset:         72
        .size:           8
        .value_kind:     by_value
      - .offset:         80
        .size:           8
        .value_kind:     by_value
      - .address_space:  global
        .offset:         88
        .size:           8
        .value_kind:     global_buffer
      - .offset:         96
        .size:           8
        .value_kind:     by_value
      - .offset:         104
        .size:           8
        .value_kind:     by_value
      - .offset:         112
        .size:           8
        .value_kind:     by_value
      - .offset:         120
        .size:           4
        .value_kind:     by_value
      - .offset:         128
        .size:           4
        .value_kind:     hidden_block_count_x
      - .offset:         132
        .size:           4
        .value_kind:     hidden_block_count_y
      - .offset:         136
        .size:           4
        .value_kind:     hidden_block_count_z
      - .offset:         140
        .size:           2
        .value_kind:     hidden_group_size_x
      - .offset:         142
        .size:           2
        .value_kind:     hidden_group_size_y
      - .offset:         144
        .size:           2
        .value_kind:     hidden_group_size_z
      - .offset:         146
        .size:           2
        .value_kind:     hidden_remainder_x
      - .offset:         148
        .size:           2
        .value_kind:     hidden_remainder_y
      - .offset:         150
        .size:           2
        .value_kind:     hidden_remainder_z
      - .offset:         168
        .size:           8
        .value_kind:     hidden_global_offset_x
      - .offset:         176
        .size:           8
        .value_kind:     hidden_global_offset_y
      - .offset:         184
        .size:           8
        .value_kind:     hidden_global_offset_z
      - .offset:         192
        .size:           2
        .value_kind:     hidden_grid_dims
    .group_segment_fixed_size: 16384
    .kernarg_segment_align: 8
    .kernarg_segment_size: 384
    .language:       OpenCL C
    .language_version:
      - 2
      - 0
    .max_flat_workgroup_size: 1024
    .name:           _ZL24rocblas_symm_hemm_kernelILb0ELb1ELi32EPK19rocblas_complex_numIfEPKS3_PKPS1_EvbiiT2_T3_lllSA_lllT4_llli
    .private_segment_fixed_size: 0
    .sgpr_count:     36
    .sgpr_spill_count: 0
    .symbol:         _ZL24rocblas_symm_hemm_kernelILb0ELb1ELi32EPK19rocblas_complex_numIfEPKS3_PKPS1_EvbiiT2_T3_lllSA_lllT4_llli.kd
    .uniform_work_group_size: 1
    .uses_dynamic_stack: false
    .vgpr_count:     37
    .vgpr_spill_count: 0
    .wavefront_size: 64
  - .args:
      - .offset:         0
        .size:           4
        .value_kind:     by_value
      - .offset:         4
        .size:           4
        .value_kind:     by_value
      - .offset:         8
        .size:           8
        .value_kind:     by_value
      - .address_space:  global
        .offset:         16
        .size:           8
        .value_kind:     global_buffer
      - .offset:         24
        .size:           8
        .value_kind:     by_value
      - .offset:         32
        .size:           8
        .value_kind:     by_value
      - .offset:         40
        .size:           8
        .value_kind:     by_value
      - .offset:         48
        .size:           4
        .value_kind:     by_value
      - .offset:         56
        .size:           4
        .value_kind:     hidden_block_count_x
      - .offset:         60
        .size:           4
        .value_kind:     hidden_block_count_y
      - .offset:         64
        .size:           4
        .value_kind:     hidden_block_count_z
      - .offset:         68
        .size:           2
        .value_kind:     hidden_group_size_x
      - .offset:         70
        .size:           2
        .value_kind:     hidden_group_size_y
      - .offset:         72
        .size:           2
        .value_kind:     hidden_group_size_z
      - .offset:         74
        .size:           2
        .value_kind:     hidden_remainder_x
      - .offset:         76
        .size:           2
        .value_kind:     hidden_remainder_y
      - .offset:         78
        .size:           2
        .value_kind:     hidden_remainder_z
      - .offset:         96
        .size:           8
        .value_kind:     hidden_global_offset_x
      - .offset:         104
        .size:           8
        .value_kind:     hidden_global_offset_y
      - .offset:         112
        .size:           8
        .value_kind:     hidden_global_offset_z
      - .offset:         120
        .size:           2
        .value_kind:     hidden_grid_dims
    .group_segment_fixed_size: 0
    .kernarg_segment_align: 8
    .kernarg_segment_size: 312
    .language:       OpenCL C
    .language_version:
      - 2
      - 0
    .max_flat_workgroup_size: 1024
    .name:           _ZL25rocblas_symm_scale_kernelILi128ELi8E19rocblas_complex_numIfEPKPS1_EviiT1_T2_llli
    .private_segment_fixed_size: 0
    .sgpr_count:     20
    .sgpr_spill_count: 0
    .symbol:         _ZL25rocblas_symm_scale_kernelILi128ELi8E19rocblas_complex_numIfEPKPS1_EviiT1_T2_llli.kd
    .uniform_work_group_size: 1
    .uses_dynamic_stack: false
    .vgpr_count:     9
    .vgpr_spill_count: 0
    .wavefront_size: 64
  - .args:
      - .offset:         0
        .size:           1
        .value_kind:     by_value
      - .offset:         4
        .size:           4
        .value_kind:     by_value
      - .offset:         8
        .size:           4
        .value_kind:     by_value
      - .offset:         12
        .size:           8
        .value_kind:     by_value
      - .address_space:  global
        .offset:         24
        .size:           8
        .value_kind:     global_buffer
      - .offset:         32
        .size:           8
        .value_kind:     by_value
      - .offset:         40
        .size:           8
        .value_kind:     by_value
      - .offset:         48
        .size:           8
        .value_kind:     by_value
      - .address_space:  global
        .offset:         56
        .size:           8
        .value_kind:     global_buffer
      - .offset:         64
        .size:           8
        .value_kind:     by_value
      - .offset:         72
        .size:           8
        .value_kind:     by_value
      - .offset:         80
        .size:           8
        .value_kind:     by_value
      - .address_space:  global
        .offset:         88
        .size:           8
        .value_kind:     global_buffer
      - .offset:         96
        .size:           8
        .value_kind:     by_value
      - .offset:         104
        .size:           8
        .value_kind:     by_value
      - .offset:         112
        .size:           8
        .value_kind:     by_value
      - .offset:         120
        .size:           4
        .value_kind:     by_value
      - .offset:         128
        .size:           4
        .value_kind:     hidden_block_count_x
      - .offset:         132
        .size:           4
        .value_kind:     hidden_block_count_y
      - .offset:         136
        .size:           4
        .value_kind:     hidden_block_count_z
      - .offset:         140
        .size:           2
        .value_kind:     hidden_group_size_x
      - .offset:         142
        .size:           2
        .value_kind:     hidden_group_size_y
      - .offset:         144
        .size:           2
        .value_kind:     hidden_group_size_z
      - .offset:         146
        .size:           2
        .value_kind:     hidden_remainder_x
      - .offset:         148
        .size:           2
        .value_kind:     hidden_remainder_y
      - .offset:         150
        .size:           2
        .value_kind:     hidden_remainder_z
      - .offset:         168
        .size:           8
        .value_kind:     hidden_global_offset_x
      - .offset:         176
        .size:           8
        .value_kind:     hidden_global_offset_y
      - .offset:         184
        .size:           8
        .value_kind:     hidden_global_offset_z
      - .offset:         192
        .size:           2
        .value_kind:     hidden_grid_dims
    .group_segment_fixed_size: 16384
    .kernarg_segment_align: 8
    .kernarg_segment_size: 384
    .language:       OpenCL C
    .language_version:
      - 2
      - 0
    .max_flat_workgroup_size: 1024
    .name:           _ZL24rocblas_symm_hemm_kernelILb0ELb0ELi32E19rocblas_complex_numIfEPKPKS1_PKPS1_EvbiiT2_T3_lllSA_lllT4_llli
    .private_segment_fixed_size: 0
    .sgpr_count:     44
    .sgpr_spill_count: 0
    .symbol:         _ZL24rocblas_symm_hemm_kernelILb0ELb0ELi32E19rocblas_complex_numIfEPKPKS1_PKPS1_EvbiiT2_T3_lllSA_lllT4_llli.kd
    .uniform_work_group_size: 1
    .uses_dynamic_stack: false
    .vgpr_count:     37
    .vgpr_spill_count: 0
    .wavefront_size: 64
  - .args:
      - .offset:         0
        .size:           1
        .value_kind:     by_value
      - .offset:         4
        .size:           4
        .value_kind:     by_value
      - .offset:         8
        .size:           4
        .value_kind:     by_value
      - .offset:         12
        .size:           8
        .value_kind:     by_value
      - .address_space:  global
        .offset:         24
        .size:           8
        .value_kind:     global_buffer
      - .offset:         32
        .size:           8
        .value_kind:     by_value
      - .offset:         40
        .size:           8
        .value_kind:     by_value
      - .offset:         48
        .size:           8
        .value_kind:     by_value
      - .address_space:  global
        .offset:         56
        .size:           8
        .value_kind:     global_buffer
      - .offset:         64
        .size:           8
        .value_kind:     by_value
      - .offset:         72
        .size:           8
        .value_kind:     by_value
      - .offset:         80
        .size:           8
        .value_kind:     by_value
      - .address_space:  global
        .offset:         88
        .size:           8
        .value_kind:     global_buffer
      - .offset:         96
        .size:           8
        .value_kind:     by_value
      - .offset:         104
        .size:           8
        .value_kind:     by_value
      - .offset:         112
        .size:           8
        .value_kind:     by_value
      - .offset:         120
        .size:           4
        .value_kind:     by_value
      - .offset:         128
        .size:           4
        .value_kind:     hidden_block_count_x
      - .offset:         132
        .size:           4
        .value_kind:     hidden_block_count_y
      - .offset:         136
        .size:           4
        .value_kind:     hidden_block_count_z
      - .offset:         140
        .size:           2
        .value_kind:     hidden_group_size_x
      - .offset:         142
        .size:           2
        .value_kind:     hidden_group_size_y
      - .offset:         144
        .size:           2
        .value_kind:     hidden_group_size_z
      - .offset:         146
        .size:           2
        .value_kind:     hidden_remainder_x
      - .offset:         148
        .size:           2
        .value_kind:     hidden_remainder_y
      - .offset:         150
        .size:           2
        .value_kind:     hidden_remainder_z
      - .offset:         168
        .size:           8
        .value_kind:     hidden_global_offset_x
      - .offset:         176
        .size:           8
        .value_kind:     hidden_global_offset_y
      - .offset:         184
        .size:           8
        .value_kind:     hidden_global_offset_z
      - .offset:         192
        .size:           2
        .value_kind:     hidden_grid_dims
    .group_segment_fixed_size: 16384
    .kernarg_segment_align: 8
    .kernarg_segment_size: 384
    .language:       OpenCL C
    .language_version:
      - 2
      - 0
    .max_flat_workgroup_size: 1024
    .name:           _ZL24rocblas_symm_hemm_kernelILb0ELb1ELi32E19rocblas_complex_numIfEPKPKS1_PKPS1_EvbiiT2_T3_lllSA_lllT4_llli
    .private_segment_fixed_size: 0
    .sgpr_count:     36
    .sgpr_spill_count: 0
    .symbol:         _ZL24rocblas_symm_hemm_kernelILb0ELb1ELi32E19rocblas_complex_numIfEPKPKS1_PKPS1_EvbiiT2_T3_lllSA_lllT4_llli.kd
    .uniform_work_group_size: 1
    .uses_dynamic_stack: false
    .vgpr_count:     37
    .vgpr_spill_count: 0
    .wavefront_size: 64
  - .args:
      - .offset:         0
        .size:           4
        .value_kind:     by_value
      - .offset:         4
        .size:           4
        .value_kind:     by_value
      - .address_space:  global
        .offset:         8
        .size:           8
        .value_kind:     global_buffer
      - .address_space:  global
        .offset:         16
        .size:           8
        .value_kind:     global_buffer
      - .offset:         24
        .size:           8
        .value_kind:     by_value
      - .offset:         32
        .size:           8
        .value_kind:     by_value
      - .offset:         40
        .size:           8
        .value_kind:     by_value
      - .offset:         48
        .size:           4
        .value_kind:     by_value
      - .offset:         56
        .size:           4
        .value_kind:     hidden_block_count_x
      - .offset:         60
        .size:           4
        .value_kind:     hidden_block_count_y
      - .offset:         64
        .size:           4
        .value_kind:     hidden_block_count_z
      - .offset:         68
        .size:           2
        .value_kind:     hidden_group_size_x
      - .offset:         70
        .size:           2
        .value_kind:     hidden_group_size_y
      - .offset:         72
        .size:           2
        .value_kind:     hidden_group_size_z
      - .offset:         74
        .size:           2
        .value_kind:     hidden_remainder_x
      - .offset:         76
        .size:           2
        .value_kind:     hidden_remainder_y
      - .offset:         78
        .size:           2
        .value_kind:     hidden_remainder_z
      - .offset:         96
        .size:           8
        .value_kind:     hidden_global_offset_x
      - .offset:         104
        .size:           8
        .value_kind:     hidden_global_offset_y
      - .offset:         112
        .size:           8
        .value_kind:     hidden_global_offset_z
      - .offset:         120
        .size:           2
        .value_kind:     hidden_grid_dims
    .group_segment_fixed_size: 0
    .kernarg_segment_align: 8
    .kernarg_segment_size: 312
    .language:       OpenCL C
    .language_version:
      - 2
      - 0
    .max_flat_workgroup_size: 1024
    .name:           _ZL25rocblas_symm_scale_kernelILi128ELi8EPK19rocblas_complex_numIdEPKPS1_EviiT1_T2_llli
    .private_segment_fixed_size: 0
    .sgpr_count:     28
    .sgpr_spill_count: 0
    .symbol:         _ZL25rocblas_symm_scale_kernelILi128ELi8EPK19rocblas_complex_numIdEPKPS1_EviiT1_T2_llli.kd
    .uniform_work_group_size: 1
    .uses_dynamic_stack: false
    .vgpr_count:     12
    .vgpr_spill_count: 0
    .wavefront_size: 64
  - .args:
      - .offset:         0
        .size:           1
        .value_kind:     by_value
      - .offset:         4
        .size:           4
        .value_kind:     by_value
      - .offset:         8
        .size:           4
        .value_kind:     by_value
      - .address_space:  global
        .offset:         16
        .size:           8
        .value_kind:     global_buffer
      - .address_space:  global
        .offset:         24
        .size:           8
        .value_kind:     global_buffer
      - .offset:         32
        .size:           8
        .value_kind:     by_value
      - .offset:         40
        .size:           8
        .value_kind:     by_value
      - .offset:         48
        .size:           8
        .value_kind:     by_value
      - .address_space:  global
        .offset:         56
        .size:           8
        .value_kind:     global_buffer
      - .offset:         64
        .size:           8
        .value_kind:     by_value
      - .offset:         72
        .size:           8
        .value_kind:     by_value
      - .offset:         80
        .size:           8
        .value_kind:     by_value
      - .address_space:  global
        .offset:         88
        .size:           8
        .value_kind:     global_buffer
      - .offset:         96
        .size:           8
        .value_kind:     by_value
      - .offset:         104
        .size:           8
        .value_kind:     by_value
      - .offset:         112
        .size:           8
        .value_kind:     by_value
      - .offset:         120
        .size:           4
        .value_kind:     by_value
      - .offset:         128
        .size:           4
        .value_kind:     hidden_block_count_x
      - .offset:         132
        .size:           4
        .value_kind:     hidden_block_count_y
      - .offset:         136
        .size:           4
        .value_kind:     hidden_block_count_z
      - .offset:         140
        .size:           2
        .value_kind:     hidden_group_size_x
      - .offset:         142
        .size:           2
        .value_kind:     hidden_group_size_y
      - .offset:         144
        .size:           2
        .value_kind:     hidden_group_size_z
      - .offset:         146
        .size:           2
        .value_kind:     hidden_remainder_x
      - .offset:         148
        .size:           2
        .value_kind:     hidden_remainder_y
      - .offset:         150
        .size:           2
        .value_kind:     hidden_remainder_z
      - .offset:         168
        .size:           8
        .value_kind:     hidden_global_offset_x
      - .offset:         176
        .size:           8
        .value_kind:     hidden_global_offset_y
      - .offset:         184
        .size:           8
        .value_kind:     hidden_global_offset_z
      - .offset:         192
        .size:           2
        .value_kind:     hidden_grid_dims
    .group_segment_fixed_size: 32768
    .kernarg_segment_align: 8
    .kernarg_segment_size: 384
    .language:       OpenCL C
    .language_version:
      - 2
      - 0
    .max_flat_workgroup_size: 1024
    .name:           _ZL24rocblas_symm_hemm_kernelILb0ELb0ELi32EPK19rocblas_complex_numIdEPKS3_PKPS1_EvbiiT2_T3_lllSA_lllT4_llli
    .private_segment_fixed_size: 0
    .sgpr_count:     44
    .sgpr_spill_count: 0
    .symbol:         _ZL24rocblas_symm_hemm_kernelILb0ELb0ELi32EPK19rocblas_complex_numIdEPKS3_PKPS1_EvbiiT2_T3_lllSA_lllT4_llli.kd
    .uniform_work_group_size: 1
    .uses_dynamic_stack: false
    .vgpr_count:     49
    .vgpr_spill_count: 0
    .wavefront_size: 64
  - .args:
      - .offset:         0
        .size:           1
        .value_kind:     by_value
      - .offset:         4
        .size:           4
        .value_kind:     by_value
      - .offset:         8
        .size:           4
        .value_kind:     by_value
      - .address_space:  global
        .offset:         16
        .size:           8
        .value_kind:     global_buffer
      - .address_space:  global
        .offset:         24
        .size:           8
        .value_kind:     global_buffer
      - .offset:         32
        .size:           8
        .value_kind:     by_value
      - .offset:         40
        .size:           8
        .value_kind:     by_value
      - .offset:         48
        .size:           8
        .value_kind:     by_value
      - .address_space:  global
        .offset:         56
        .size:           8
        .value_kind:     global_buffer
      - .offset:         64
        .size:           8
        .value_kind:     by_value
      - .offset:         72
        .size:           8
        .value_kind:     by_value
      - .offset:         80
        .size:           8
        .value_kind:     by_value
      - .address_space:  global
        .offset:         88
        .size:           8
        .value_kind:     global_buffer
      - .offset:         96
        .size:           8
        .value_kind:     by_value
      - .offset:         104
        .size:           8
        .value_kind:     by_value
      - .offset:         112
        .size:           8
        .value_kind:     by_value
      - .offset:         120
        .size:           4
        .value_kind:     by_value
      - .offset:         128
        .size:           4
        .value_kind:     hidden_block_count_x
      - .offset:         132
        .size:           4
        .value_kind:     hidden_block_count_y
      - .offset:         136
        .size:           4
        .value_kind:     hidden_block_count_z
      - .offset:         140
        .size:           2
        .value_kind:     hidden_group_size_x
      - .offset:         142
        .size:           2
        .value_kind:     hidden_group_size_y
      - .offset:         144
        .size:           2
        .value_kind:     hidden_group_size_z
      - .offset:         146
        .size:           2
        .value_kind:     hidden_remainder_x
      - .offset:         148
        .size:           2
        .value_kind:     hidden_remainder_y
      - .offset:         150
        .size:           2
        .value_kind:     hidden_remainder_z
      - .offset:         168
        .size:           8
        .value_kind:     hidden_global_offset_x
      - .offset:         176
        .size:           8
        .value_kind:     hidden_global_offset_y
      - .offset:         184
        .size:           8
        .value_kind:     hidden_global_offset_z
      - .offset:         192
        .size:           2
        .value_kind:     hidden_grid_dims
    .group_segment_fixed_size: 32768
    .kernarg_segment_align: 8
    .kernarg_segment_size: 384
    .language:       OpenCL C
    .language_version:
      - 2
      - 0
    .max_flat_workgroup_size: 1024
    .name:           _ZL24rocblas_symm_hemm_kernelILb0ELb1ELi32EPK19rocblas_complex_numIdEPKS3_PKPS1_EvbiiT2_T3_lllSA_lllT4_llli
    .private_segment_fixed_size: 0
    .sgpr_count:     40
    .sgpr_spill_count: 0
    .symbol:         _ZL24rocblas_symm_hemm_kernelILb0ELb1ELi32EPK19rocblas_complex_numIdEPKS3_PKPS1_EvbiiT2_T3_lllSA_lllT4_llli.kd
    .uniform_work_group_size: 1
    .uses_dynamic_stack: false
    .vgpr_count:     49
    .vgpr_spill_count: 0
    .wavefront_size: 64
  - .args:
      - .offset:         0
        .size:           4
        .value_kind:     by_value
      - .offset:         4
        .size:           4
        .value_kind:     by_value
      - .offset:         8
        .size:           16
        .value_kind:     by_value
      - .address_space:  global
        .offset:         24
        .size:           8
        .value_kind:     global_buffer
      - .offset:         32
        .size:           8
        .value_kind:     by_value
      - .offset:         40
        .size:           8
        .value_kind:     by_value
      - .offset:         48
        .size:           8
        .value_kind:     by_value
      - .offset:         56
        .size:           4
        .value_kind:     by_value
      - .offset:         64
        .size:           4
        .value_kind:     hidden_block_count_x
      - .offset:         68
        .size:           4
        .value_kind:     hidden_block_count_y
      - .offset:         72
        .size:           4
        .value_kind:     hidden_block_count_z
      - .offset:         76
        .size:           2
        .value_kind:     hidden_group_size_x
      - .offset:         78
        .size:           2
        .value_kind:     hidden_group_size_y
      - .offset:         80
        .size:           2
        .value_kind:     hidden_group_size_z
      - .offset:         82
        .size:           2
        .value_kind:     hidden_remainder_x
      - .offset:         84
        .size:           2
        .value_kind:     hidden_remainder_y
      - .offset:         86
        .size:           2
        .value_kind:     hidden_remainder_z
      - .offset:         104
        .size:           8
        .value_kind:     hidden_global_offset_x
      - .offset:         112
        .size:           8
        .value_kind:     hidden_global_offset_y
      - .offset:         120
        .size:           8
        .value_kind:     hidden_global_offset_z
      - .offset:         128
        .size:           2
        .value_kind:     hidden_grid_dims
    .group_segment_fixed_size: 0
    .kernarg_segment_align: 8
    .kernarg_segment_size: 320
    .language:       OpenCL C
    .language_version:
      - 2
      - 0
    .max_flat_workgroup_size: 1024
    .name:           _ZL25rocblas_symm_scale_kernelILi128ELi8E19rocblas_complex_numIdEPKPS1_EviiT1_T2_llli
    .private_segment_fixed_size: 0
    .sgpr_count:     25
    .sgpr_spill_count: 0
    .symbol:         _ZL25rocblas_symm_scale_kernelILi128ELi8E19rocblas_complex_numIdEPKPS1_EviiT1_T2_llli.kd
    .uniform_work_group_size: 1
    .uses_dynamic_stack: false
    .vgpr_count:     12
    .vgpr_spill_count: 0
    .wavefront_size: 64
  - .args:
      - .offset:         0
        .size:           1
        .value_kind:     by_value
      - .offset:         4
        .size:           4
        .value_kind:     by_value
      - .offset:         8
        .size:           4
        .value_kind:     by_value
      - .offset:         16
        .size:           16
        .value_kind:     by_value
      - .address_space:  global
        .offset:         32
        .size:           8
        .value_kind:     global_buffer
      - .offset:         40
        .size:           8
        .value_kind:     by_value
      - .offset:         48
        .size:           8
        .value_kind:     by_value
      - .offset:         56
        .size:           8
        .value_kind:     by_value
      - .address_space:  global
        .offset:         64
        .size:           8
        .value_kind:     global_buffer
      - .offset:         72
        .size:           8
        .value_kind:     by_value
      - .offset:         80
        .size:           8
        .value_kind:     by_value
      - .offset:         88
        .size:           8
        .value_kind:     by_value
      - .address_space:  global
        .offset:         96
        .size:           8
        .value_kind:     global_buffer
      - .offset:         104
        .size:           8
        .value_kind:     by_value
      - .offset:         112
        .size:           8
        .value_kind:     by_value
      - .offset:         120
        .size:           8
        .value_kind:     by_value
      - .offset:         128
        .size:           4
        .value_kind:     by_value
      - .offset:         136
        .size:           4
        .value_kind:     hidden_block_count_x
      - .offset:         140
        .size:           4
        .value_kind:     hidden_block_count_y
      - .offset:         144
        .size:           4
        .value_kind:     hidden_block_count_z
      - .offset:         148
        .size:           2
        .value_kind:     hidden_group_size_x
      - .offset:         150
        .size:           2
        .value_kind:     hidden_group_size_y
      - .offset:         152
        .size:           2
        .value_kind:     hidden_group_size_z
      - .offset:         154
        .size:           2
        .value_kind:     hidden_remainder_x
      - .offset:         156
        .size:           2
        .value_kind:     hidden_remainder_y
      - .offset:         158
        .size:           2
        .value_kind:     hidden_remainder_z
      - .offset:         176
        .size:           8
        .value_kind:     hidden_global_offset_x
      - .offset:         184
        .size:           8
        .value_kind:     hidden_global_offset_y
      - .offset:         192
        .size:           8
        .value_kind:     hidden_global_offset_z
      - .offset:         200
        .size:           2
        .value_kind:     hidden_grid_dims
    .group_segment_fixed_size: 32768
    .kernarg_segment_align: 8
    .kernarg_segment_size: 392
    .language:       OpenCL C
    .language_version:
      - 2
      - 0
    .max_flat_workgroup_size: 1024
    .name:           _ZL24rocblas_symm_hemm_kernelILb0ELb0ELi32E19rocblas_complex_numIdEPKPKS1_PKPS1_EvbiiT2_T3_lllSA_lllT4_llli
    .private_segment_fixed_size: 0
    .sgpr_count:     36
    .sgpr_spill_count: 0
    .symbol:         _ZL24rocblas_symm_hemm_kernelILb0ELb0ELi32E19rocblas_complex_numIdEPKPKS1_PKPS1_EvbiiT2_T3_lllSA_lllT4_llli.kd
    .uniform_work_group_size: 1
    .uses_dynamic_stack: false
    .vgpr_count:     49
    .vgpr_spill_count: 0
    .wavefront_size: 64
  - .args:
      - .offset:         0
        .size:           1
        .value_kind:     by_value
      - .offset:         4
        .size:           4
        .value_kind:     by_value
      - .offset:         8
        .size:           4
        .value_kind:     by_value
      - .offset:         16
        .size:           16
        .value_kind:     by_value
      - .address_space:  global
        .offset:         32
        .size:           8
        .value_kind:     global_buffer
      - .offset:         40
        .size:           8
        .value_kind:     by_value
      - .offset:         48
        .size:           8
        .value_kind:     by_value
      - .offset:         56
        .size:           8
        .value_kind:     by_value
      - .address_space:  global
        .offset:         64
        .size:           8
        .value_kind:     global_buffer
      - .offset:         72
        .size:           8
        .value_kind:     by_value
      - .offset:         80
        .size:           8
        .value_kind:     by_value
      - .offset:         88
        .size:           8
        .value_kind:     by_value
      - .address_space:  global
        .offset:         96
        .size:           8
        .value_kind:     global_buffer
      - .offset:         104
        .size:           8
        .value_kind:     by_value
      - .offset:         112
        .size:           8
        .value_kind:     by_value
      - .offset:         120
        .size:           8
        .value_kind:     by_value
      - .offset:         128
        .size:           4
        .value_kind:     by_value
      - .offset:         136
        .size:           4
        .value_kind:     hidden_block_count_x
      - .offset:         140
        .size:           4
        .value_kind:     hidden_block_count_y
      - .offset:         144
        .size:           4
        .value_kind:     hidden_block_count_z
      - .offset:         148
        .size:           2
        .value_kind:     hidden_group_size_x
      - .offset:         150
        .size:           2
        .value_kind:     hidden_group_size_y
      - .offset:         152
        .size:           2
        .value_kind:     hidden_group_size_z
      - .offset:         154
        .size:           2
        .value_kind:     hidden_remainder_x
      - .offset:         156
        .size:           2
        .value_kind:     hidden_remainder_y
      - .offset:         158
        .size:           2
        .value_kind:     hidden_remainder_z
      - .offset:         176
        .size:           8
        .value_kind:     hidden_global_offset_x
      - .offset:         184
        .size:           8
        .value_kind:     hidden_global_offset_y
      - .offset:         192
        .size:           8
        .value_kind:     hidden_global_offset_z
      - .offset:         200
        .size:           2
        .value_kind:     hidden_grid_dims
    .group_segment_fixed_size: 32768
    .kernarg_segment_align: 8
    .kernarg_segment_size: 392
    .language:       OpenCL C
    .language_version:
      - 2
      - 0
    .max_flat_workgroup_size: 1024
    .name:           _ZL24rocblas_symm_hemm_kernelILb0ELb1ELi32E19rocblas_complex_numIdEPKPKS1_PKPS1_EvbiiT2_T3_lllSA_lllT4_llli
    .private_segment_fixed_size: 0
    .sgpr_count:     36
    .sgpr_spill_count: 0
    .symbol:         _ZL24rocblas_symm_hemm_kernelILb0ELb1ELi32E19rocblas_complex_numIdEPKPKS1_PKPS1_EvbiiT2_T3_lllSA_lllT4_llli.kd
    .uniform_work_group_size: 1
    .uses_dynamic_stack: false
    .vgpr_count:     49
    .vgpr_spill_count: 0
    .wavefront_size: 64
  - .args:
      - .offset:         0
        .size:           1
        .value_kind:     by_value
      - .offset:         4
        .size:           4
        .value_kind:     by_value
      - .offset:         8
        .size:           4
        .value_kind:     by_value
      - .address_space:  global
        .offset:         16
        .size:           8
        .value_kind:     global_buffer
      - .address_space:  global
        .offset:         24
        .size:           8
        .value_kind:     global_buffer
      - .offset:         32
        .size:           8
        .value_kind:     by_value
      - .offset:         40
        .size:           8
        .value_kind:     by_value
      - .offset:         48
        .size:           8
        .value_kind:     by_value
      - .address_space:  global
        .offset:         56
        .size:           8
        .value_kind:     global_buffer
      - .offset:         64
        .size:           8
        .value_kind:     by_value
      - .offset:         72
        .size:           8
        .value_kind:     by_value
      - .offset:         80
        .size:           8
        .value_kind:     by_value
      - .address_space:  global
        .offset:         88
        .size:           8
        .value_kind:     global_buffer
      - .offset:         96
        .size:           8
        .value_kind:     by_value
      - .offset:         104
        .size:           8
        .value_kind:     by_value
      - .offset:         112
        .size:           8
        .value_kind:     by_value
      - .offset:         120
        .size:           4
        .value_kind:     by_value
      - .offset:         128
        .size:           4
        .value_kind:     hidden_block_count_x
      - .offset:         132
        .size:           4
        .value_kind:     hidden_block_count_y
      - .offset:         136
        .size:           4
        .value_kind:     hidden_block_count_z
      - .offset:         140
        .size:           2
        .value_kind:     hidden_group_size_x
      - .offset:         142
        .size:           2
        .value_kind:     hidden_group_size_y
      - .offset:         144
        .size:           2
        .value_kind:     hidden_group_size_z
      - .offset:         146
        .size:           2
        .value_kind:     hidden_remainder_x
      - .offset:         148
        .size:           2
        .value_kind:     hidden_remainder_y
      - .offset:         150
        .size:           2
        .value_kind:     hidden_remainder_z
      - .offset:         168
        .size:           8
        .value_kind:     hidden_global_offset_x
      - .offset:         176
        .size:           8
        .value_kind:     hidden_global_offset_y
      - .offset:         184
        .size:           8
        .value_kind:     hidden_global_offset_z
      - .offset:         192
        .size:           2
        .value_kind:     hidden_grid_dims
    .group_segment_fixed_size: 16384
    .kernarg_segment_align: 8
    .kernarg_segment_size: 384
    .language:       OpenCL C
    .language_version:
      - 2
      - 0
    .max_flat_workgroup_size: 1024
    .name:           _ZL24rocblas_symm_hemm_kernelILb1ELb0ELi32EPK19rocblas_complex_numIfEPKS3_PKPS1_EvbiiT2_T3_lllSA_lllT4_llli
    .private_segment_fixed_size: 0
    .sgpr_count:     36
    .sgpr_spill_count: 0
    .symbol:         _ZL24rocblas_symm_hemm_kernelILb1ELb0ELi32EPK19rocblas_complex_numIfEPKS3_PKPS1_EvbiiT2_T3_lllSA_lllT4_llli.kd
    .uniform_work_group_size: 1
    .uses_dynamic_stack: false
    .vgpr_count:     39
    .vgpr_spill_count: 0
    .wavefront_size: 64
  - .args:
      - .offset:         0
        .size:           1
        .value_kind:     by_value
      - .offset:         4
        .size:           4
        .value_kind:     by_value
      - .offset:         8
        .size:           4
        .value_kind:     by_value
      - .address_space:  global
        .offset:         16
        .size:           8
        .value_kind:     global_buffer
      - .address_space:  global
        .offset:         24
        .size:           8
        .value_kind:     global_buffer
      - .offset:         32
        .size:           8
        .value_kind:     by_value
      - .offset:         40
        .size:           8
        .value_kind:     by_value
      - .offset:         48
        .size:           8
        .value_kind:     by_value
      - .address_space:  global
        .offset:         56
        .size:           8
        .value_kind:     global_buffer
      - .offset:         64
        .size:           8
        .value_kind:     by_value
      - .offset:         72
        .size:           8
        .value_kind:     by_value
      - .offset:         80
        .size:           8
        .value_kind:     by_value
      - .address_space:  global
        .offset:         88
        .size:           8
        .value_kind:     global_buffer
      - .offset:         96
        .size:           8
        .value_kind:     by_value
      - .offset:         104
        .size:           8
        .value_kind:     by_value
      - .offset:         112
        .size:           8
        .value_kind:     by_value
      - .offset:         120
        .size:           4
        .value_kind:     by_value
      - .offset:         128
        .size:           4
        .value_kind:     hidden_block_count_x
      - .offset:         132
        .size:           4
        .value_kind:     hidden_block_count_y
      - .offset:         136
        .size:           4
        .value_kind:     hidden_block_count_z
      - .offset:         140
        .size:           2
        .value_kind:     hidden_group_size_x
      - .offset:         142
        .size:           2
        .value_kind:     hidden_group_size_y
      - .offset:         144
        .size:           2
        .value_kind:     hidden_group_size_z
      - .offset:         146
        .size:           2
        .value_kind:     hidden_remainder_x
      - .offset:         148
        .size:           2
        .value_kind:     hidden_remainder_y
      - .offset:         150
        .size:           2
        .value_kind:     hidden_remainder_z
      - .offset:         168
        .size:           8
        .value_kind:     hidden_global_offset_x
      - .offset:         176
        .size:           8
        .value_kind:     hidden_global_offset_y
      - .offset:         184
        .size:           8
        .value_kind:     hidden_global_offset_z
      - .offset:         192
        .size:           2
        .value_kind:     hidden_grid_dims
    .group_segment_fixed_size: 16384
    .kernarg_segment_align: 8
    .kernarg_segment_size: 384
    .language:       OpenCL C
    .language_version:
      - 2
      - 0
    .max_flat_workgroup_size: 1024
    .name:           _ZL24rocblas_symm_hemm_kernelILb1ELb1ELi32EPK19rocblas_complex_numIfEPKS3_PKPS1_EvbiiT2_T3_lllSA_lllT4_llli
    .private_segment_fixed_size: 0
    .sgpr_count:     36
    .sgpr_spill_count: 0
    .symbol:         _ZL24rocblas_symm_hemm_kernelILb1ELb1ELi32EPK19rocblas_complex_numIfEPKS3_PKPS1_EvbiiT2_T3_lllSA_lllT4_llli.kd
    .uniform_work_group_size: 1
    .uses_dynamic_stack: false
    .vgpr_count:     42
    .vgpr_spill_count: 0
    .wavefront_size: 64
  - .args:
      - .offset:         0
        .size:           1
        .value_kind:     by_value
      - .offset:         4
        .size:           4
        .value_kind:     by_value
      - .offset:         8
        .size:           4
        .value_kind:     by_value
      - .offset:         12
        .size:           8
        .value_kind:     by_value
      - .address_space:  global
        .offset:         24
        .size:           8
        .value_kind:     global_buffer
      - .offset:         32
        .size:           8
        .value_kind:     by_value
      - .offset:         40
        .size:           8
        .value_kind:     by_value
      - .offset:         48
        .size:           8
        .value_kind:     by_value
      - .address_space:  global
        .offset:         56
        .size:           8
        .value_kind:     global_buffer
      - .offset:         64
        .size:           8
        .value_kind:     by_value
      - .offset:         72
        .size:           8
        .value_kind:     by_value
      - .offset:         80
        .size:           8
        .value_kind:     by_value
      - .address_space:  global
        .offset:         88
        .size:           8
        .value_kind:     global_buffer
      - .offset:         96
        .size:           8
        .value_kind:     by_value
      - .offset:         104
        .size:           8
        .value_kind:     by_value
      - .offset:         112
        .size:           8
        .value_kind:     by_value
      - .offset:         120
        .size:           4
        .value_kind:     by_value
      - .offset:         128
        .size:           4
        .value_kind:     hidden_block_count_x
      - .offset:         132
        .size:           4
        .value_kind:     hidden_block_count_y
      - .offset:         136
        .size:           4
        .value_kind:     hidden_block_count_z
      - .offset:         140
        .size:           2
        .value_kind:     hidden_group_size_x
      - .offset:         142
        .size:           2
        .value_kind:     hidden_group_size_y
      - .offset:         144
        .size:           2
        .value_kind:     hidden_group_size_z
      - .offset:         146
        .size:           2
        .value_kind:     hidden_remainder_x
      - .offset:         148
        .size:           2
        .value_kind:     hidden_remainder_y
      - .offset:         150
        .size:           2
        .value_kind:     hidden_remainder_z
      - .offset:         168
        .size:           8
        .value_kind:     hidden_global_offset_x
      - .offset:         176
        .size:           8
        .value_kind:     hidden_global_offset_y
      - .offset:         184
        .size:           8
        .value_kind:     hidden_global_offset_z
      - .offset:         192
        .size:           2
        .value_kind:     hidden_grid_dims
    .group_segment_fixed_size: 16384
    .kernarg_segment_align: 8
    .kernarg_segment_size: 384
    .language:       OpenCL C
    .language_version:
      - 2
      - 0
    .max_flat_workgroup_size: 1024
    .name:           _ZL24rocblas_symm_hemm_kernelILb1ELb0ELi32E19rocblas_complex_numIfEPKPKS1_PKPS1_EvbiiT2_T3_lllSA_lllT4_llli
    .private_segment_fixed_size: 0
    .sgpr_count:     36
    .sgpr_spill_count: 0
    .symbol:         _ZL24rocblas_symm_hemm_kernelILb1ELb0ELi32E19rocblas_complex_numIfEPKPKS1_PKPS1_EvbiiT2_T3_lllSA_lllT4_llli.kd
    .uniform_work_group_size: 1
    .uses_dynamic_stack: false
    .vgpr_count:     39
    .vgpr_spill_count: 0
    .wavefront_size: 64
  - .args:
      - .offset:         0
        .size:           1
        .value_kind:     by_value
      - .offset:         4
        .size:           4
        .value_kind:     by_value
      - .offset:         8
        .size:           4
        .value_kind:     by_value
      - .offset:         12
        .size:           8
        .value_kind:     by_value
      - .address_space:  global
        .offset:         24
        .size:           8
        .value_kind:     global_buffer
      - .offset:         32
        .size:           8
        .value_kind:     by_value
      - .offset:         40
        .size:           8
        .value_kind:     by_value
      - .offset:         48
        .size:           8
        .value_kind:     by_value
      - .address_space:  global
        .offset:         56
        .size:           8
        .value_kind:     global_buffer
      - .offset:         64
        .size:           8
        .value_kind:     by_value
      - .offset:         72
        .size:           8
        .value_kind:     by_value
      - .offset:         80
        .size:           8
        .value_kind:     by_value
      - .address_space:  global
        .offset:         88
        .size:           8
        .value_kind:     global_buffer
      - .offset:         96
        .size:           8
        .value_kind:     by_value
      - .offset:         104
        .size:           8
        .value_kind:     by_value
      - .offset:         112
        .size:           8
        .value_kind:     by_value
      - .offset:         120
        .size:           4
        .value_kind:     by_value
      - .offset:         128
        .size:           4
        .value_kind:     hidden_block_count_x
      - .offset:         132
        .size:           4
        .value_kind:     hidden_block_count_y
      - .offset:         136
        .size:           4
        .value_kind:     hidden_block_count_z
      - .offset:         140
        .size:           2
        .value_kind:     hidden_group_size_x
      - .offset:         142
        .size:           2
        .value_kind:     hidden_group_size_y
      - .offset:         144
        .size:           2
        .value_kind:     hidden_group_size_z
      - .offset:         146
        .size:           2
        .value_kind:     hidden_remainder_x
      - .offset:         148
        .size:           2
        .value_kind:     hidden_remainder_y
      - .offset:         150
        .size:           2
        .value_kind:     hidden_remainder_z
      - .offset:         168
        .size:           8
        .value_kind:     hidden_global_offset_x
      - .offset:         176
        .size:           8
        .value_kind:     hidden_global_offset_y
      - .offset:         184
        .size:           8
        .value_kind:     hidden_global_offset_z
      - .offset:         192
        .size:           2
        .value_kind:     hidden_grid_dims
    .group_segment_fixed_size: 16384
    .kernarg_segment_align: 8
    .kernarg_segment_size: 384
    .language:       OpenCL C
    .language_version:
      - 2
      - 0
    .max_flat_workgroup_size: 1024
    .name:           _ZL24rocblas_symm_hemm_kernelILb1ELb1ELi32E19rocblas_complex_numIfEPKPKS1_PKPS1_EvbiiT2_T3_lllSA_lllT4_llli
    .private_segment_fixed_size: 0
    .sgpr_count:     36
    .sgpr_spill_count: 0
    .symbol:         _ZL24rocblas_symm_hemm_kernelILb1ELb1ELi32E19rocblas_complex_numIfEPKPKS1_PKPS1_EvbiiT2_T3_lllSA_lllT4_llli.kd
    .uniform_work_group_size: 1
    .uses_dynamic_stack: false
    .vgpr_count:     42
    .vgpr_spill_count: 0
    .wavefront_size: 64
  - .args:
      - .offset:         0
        .size:           1
        .value_kind:     by_value
      - .offset:         4
        .size:           4
        .value_kind:     by_value
      - .offset:         8
        .size:           4
        .value_kind:     by_value
      - .address_space:  global
        .offset:         16
        .size:           8
        .value_kind:     global_buffer
      - .address_space:  global
        .offset:         24
        .size:           8
        .value_kind:     global_buffer
      - .offset:         32
        .size:           8
        .value_kind:     by_value
      - .offset:         40
        .size:           8
        .value_kind:     by_value
      - .offset:         48
        .size:           8
        .value_kind:     by_value
      - .address_space:  global
        .offset:         56
        .size:           8
        .value_kind:     global_buffer
      - .offset:         64
        .size:           8
        .value_kind:     by_value
      - .offset:         72
        .size:           8
        .value_kind:     by_value
      - .offset:         80
        .size:           8
        .value_kind:     by_value
      - .address_space:  global
        .offset:         88
        .size:           8
        .value_kind:     global_buffer
      - .offset:         96
        .size:           8
        .value_kind:     by_value
      - .offset:         104
        .size:           8
        .value_kind:     by_value
      - .offset:         112
        .size:           8
        .value_kind:     by_value
      - .offset:         120
        .size:           4
        .value_kind:     by_value
      - .offset:         128
        .size:           4
        .value_kind:     hidden_block_count_x
      - .offset:         132
        .size:           4
        .value_kind:     hidden_block_count_y
      - .offset:         136
        .size:           4
        .value_kind:     hidden_block_count_z
      - .offset:         140
        .size:           2
        .value_kind:     hidden_group_size_x
      - .offset:         142
        .size:           2
        .value_kind:     hidden_group_size_y
      - .offset:         144
        .size:           2
        .value_kind:     hidden_group_size_z
      - .offset:         146
        .size:           2
        .value_kind:     hidden_remainder_x
      - .offset:         148
        .size:           2
        .value_kind:     hidden_remainder_y
      - .offset:         150
        .size:           2
        .value_kind:     hidden_remainder_z
      - .offset:         168
        .size:           8
        .value_kind:     hidden_global_offset_x
      - .offset:         176
        .size:           8
        .value_kind:     hidden_global_offset_y
      - .offset:         184
        .size:           8
        .value_kind:     hidden_global_offset_z
      - .offset:         192
        .size:           2
        .value_kind:     hidden_grid_dims
    .group_segment_fixed_size: 32768
    .kernarg_segment_align: 8
    .kernarg_segment_size: 384
    .language:       OpenCL C
    .language_version:
      - 2
      - 0
    .max_flat_workgroup_size: 1024
    .name:           _ZL24rocblas_symm_hemm_kernelILb1ELb0ELi32EPK19rocblas_complex_numIdEPKS3_PKPS1_EvbiiT2_T3_lllSA_lllT4_llli
    .private_segment_fixed_size: 0
    .sgpr_count:     40
    .sgpr_spill_count: 0
    .symbol:         _ZL24rocblas_symm_hemm_kernelILb1ELb0ELi32EPK19rocblas_complex_numIdEPKS3_PKPS1_EvbiiT2_T3_lllSA_lllT4_llli.kd
    .uniform_work_group_size: 1
    .uses_dynamic_stack: false
    .vgpr_count:     43
    .vgpr_spill_count: 0
    .wavefront_size: 64
  - .args:
      - .offset:         0
        .size:           1
        .value_kind:     by_value
      - .offset:         4
        .size:           4
        .value_kind:     by_value
      - .offset:         8
        .size:           4
        .value_kind:     by_value
      - .address_space:  global
        .offset:         16
        .size:           8
        .value_kind:     global_buffer
      - .address_space:  global
        .offset:         24
        .size:           8
        .value_kind:     global_buffer
      - .offset:         32
        .size:           8
        .value_kind:     by_value
      - .offset:         40
        .size:           8
        .value_kind:     by_value
      - .offset:         48
        .size:           8
        .value_kind:     by_value
      - .address_space:  global
        .offset:         56
        .size:           8
        .value_kind:     global_buffer
      - .offset:         64
        .size:           8
        .value_kind:     by_value
      - .offset:         72
        .size:           8
        .value_kind:     by_value
      - .offset:         80
        .size:           8
        .value_kind:     by_value
      - .address_space:  global
        .offset:         88
        .size:           8
        .value_kind:     global_buffer
      - .offset:         96
        .size:           8
        .value_kind:     by_value
      - .offset:         104
        .size:           8
        .value_kind:     by_value
      - .offset:         112
        .size:           8
        .value_kind:     by_value
      - .offset:         120
        .size:           4
        .value_kind:     by_value
      - .offset:         128
        .size:           4
        .value_kind:     hidden_block_count_x
      - .offset:         132
        .size:           4
        .value_kind:     hidden_block_count_y
      - .offset:         136
        .size:           4
        .value_kind:     hidden_block_count_z
      - .offset:         140
        .size:           2
        .value_kind:     hidden_group_size_x
      - .offset:         142
        .size:           2
        .value_kind:     hidden_group_size_y
      - .offset:         144
        .size:           2
        .value_kind:     hidden_group_size_z
      - .offset:         146
        .size:           2
        .value_kind:     hidden_remainder_x
      - .offset:         148
        .size:           2
        .value_kind:     hidden_remainder_y
      - .offset:         150
        .size:           2
        .value_kind:     hidden_remainder_z
      - .offset:         168
        .size:           8
        .value_kind:     hidden_global_offset_x
      - .offset:         176
        .size:           8
        .value_kind:     hidden_global_offset_y
      - .offset:         184
        .size:           8
        .value_kind:     hidden_global_offset_z
      - .offset:         192
        .size:           2
        .value_kind:     hidden_grid_dims
    .group_segment_fixed_size: 32768
    .kernarg_segment_align: 8
    .kernarg_segment_size: 384
    .language:       OpenCL C
    .language_version:
      - 2
      - 0
    .max_flat_workgroup_size: 1024
    .name:           _ZL24rocblas_symm_hemm_kernelILb1ELb1ELi32EPK19rocblas_complex_numIdEPKS3_PKPS1_EvbiiT2_T3_lllSA_lllT4_llli
    .private_segment_fixed_size: 0
    .sgpr_count:     44
    .sgpr_spill_count: 0
    .symbol:         _ZL24rocblas_symm_hemm_kernelILb1ELb1ELi32EPK19rocblas_complex_numIdEPKS3_PKPS1_EvbiiT2_T3_lllSA_lllT4_llli.kd
    .uniform_work_group_size: 1
    .uses_dynamic_stack: false
    .vgpr_count:     43
    .vgpr_spill_count: 0
    .wavefront_size: 64
  - .args:
      - .offset:         0
        .size:           1
        .value_kind:     by_value
      - .offset:         4
        .size:           4
        .value_kind:     by_value
      - .offset:         8
        .size:           4
        .value_kind:     by_value
      - .offset:         16
        .size:           16
        .value_kind:     by_value
      - .address_space:  global
        .offset:         32
        .size:           8
        .value_kind:     global_buffer
      - .offset:         40
        .size:           8
        .value_kind:     by_value
      - .offset:         48
        .size:           8
        .value_kind:     by_value
      - .offset:         56
        .size:           8
        .value_kind:     by_value
      - .address_space:  global
        .offset:         64
        .size:           8
        .value_kind:     global_buffer
      - .offset:         72
        .size:           8
        .value_kind:     by_value
      - .offset:         80
        .size:           8
        .value_kind:     by_value
      - .offset:         88
        .size:           8
        .value_kind:     by_value
      - .address_space:  global
        .offset:         96
        .size:           8
        .value_kind:     global_buffer
      - .offset:         104
        .size:           8
        .value_kind:     by_value
      - .offset:         112
        .size:           8
        .value_kind:     by_value
      - .offset:         120
        .size:           8
        .value_kind:     by_value
      - .offset:         128
        .size:           4
        .value_kind:     by_value
      - .offset:         136
        .size:           4
        .value_kind:     hidden_block_count_x
      - .offset:         140
        .size:           4
        .value_kind:     hidden_block_count_y
      - .offset:         144
        .size:           4
        .value_kind:     hidden_block_count_z
      - .offset:         148
        .size:           2
        .value_kind:     hidden_group_size_x
      - .offset:         150
        .size:           2
        .value_kind:     hidden_group_size_y
      - .offset:         152
        .size:           2
        .value_kind:     hidden_group_size_z
      - .offset:         154
        .size:           2
        .value_kind:     hidden_remainder_x
      - .offset:         156
        .size:           2
        .value_kind:     hidden_remainder_y
      - .offset:         158
        .size:           2
        .value_kind:     hidden_remainder_z
      - .offset:         176
        .size:           8
        .value_kind:     hidden_global_offset_x
      - .offset:         184
        .size:           8
        .value_kind:     hidden_global_offset_y
      - .offset:         192
        .size:           8
        .value_kind:     hidden_global_offset_z
      - .offset:         200
        .size:           2
        .value_kind:     hidden_grid_dims
    .group_segment_fixed_size: 32768
    .kernarg_segment_align: 8
    .kernarg_segment_size: 392
    .language:       OpenCL C
    .language_version:
      - 2
      - 0
    .max_flat_workgroup_size: 1024
    .name:           _ZL24rocblas_symm_hemm_kernelILb1ELb0ELi32E19rocblas_complex_numIdEPKPKS1_PKPS1_EvbiiT2_T3_lllSA_lllT4_llli
    .private_segment_fixed_size: 0
    .sgpr_count:     39
    .sgpr_spill_count: 0
    .symbol:         _ZL24rocblas_symm_hemm_kernelILb1ELb0ELi32E19rocblas_complex_numIdEPKPKS1_PKPS1_EvbiiT2_T3_lllSA_lllT4_llli.kd
    .uniform_work_group_size: 1
    .uses_dynamic_stack: false
    .vgpr_count:     43
    .vgpr_spill_count: 0
    .wavefront_size: 64
  - .args:
      - .offset:         0
        .size:           1
        .value_kind:     by_value
      - .offset:         4
        .size:           4
        .value_kind:     by_value
      - .offset:         8
        .size:           4
        .value_kind:     by_value
      - .offset:         16
        .size:           16
        .value_kind:     by_value
      - .address_space:  global
        .offset:         32
        .size:           8
        .value_kind:     global_buffer
      - .offset:         40
        .size:           8
        .value_kind:     by_value
      - .offset:         48
        .size:           8
        .value_kind:     by_value
      - .offset:         56
        .size:           8
        .value_kind:     by_value
      - .address_space:  global
        .offset:         64
        .size:           8
        .value_kind:     global_buffer
      - .offset:         72
        .size:           8
        .value_kind:     by_value
      - .offset:         80
        .size:           8
        .value_kind:     by_value
      - .offset:         88
        .size:           8
        .value_kind:     by_value
      - .address_space:  global
        .offset:         96
        .size:           8
        .value_kind:     global_buffer
      - .offset:         104
        .size:           8
        .value_kind:     by_value
      - .offset:         112
        .size:           8
        .value_kind:     by_value
      - .offset:         120
        .size:           8
        .value_kind:     by_value
      - .offset:         128
        .size:           4
        .value_kind:     by_value
      - .offset:         136
        .size:           4
        .value_kind:     hidden_block_count_x
      - .offset:         140
        .size:           4
        .value_kind:     hidden_block_count_y
      - .offset:         144
        .size:           4
        .value_kind:     hidden_block_count_z
      - .offset:         148
        .size:           2
        .value_kind:     hidden_group_size_x
      - .offset:         150
        .size:           2
        .value_kind:     hidden_group_size_y
      - .offset:         152
        .size:           2
        .value_kind:     hidden_group_size_z
      - .offset:         154
        .size:           2
        .value_kind:     hidden_remainder_x
      - .offset:         156
        .size:           2
        .value_kind:     hidden_remainder_y
      - .offset:         158
        .size:           2
        .value_kind:     hidden_remainder_z
      - .offset:         176
        .size:           8
        .value_kind:     hidden_global_offset_x
      - .offset:         184
        .size:           8
        .value_kind:     hidden_global_offset_y
      - .offset:         192
        .size:           8
        .value_kind:     hidden_global_offset_z
      - .offset:         200
        .size:           2
        .value_kind:     hidden_grid_dims
    .group_segment_fixed_size: 32768
    .kernarg_segment_align: 8
    .kernarg_segment_size: 392
    .language:       OpenCL C
    .language_version:
      - 2
      - 0
    .max_flat_workgroup_size: 1024
    .name:           _ZL24rocblas_symm_hemm_kernelILb1ELb1ELi32E19rocblas_complex_numIdEPKPKS1_PKPS1_EvbiiT2_T3_lllSA_lllT4_llli
    .private_segment_fixed_size: 0
    .sgpr_count:     36
    .sgpr_spill_count: 0
    .symbol:         _ZL24rocblas_symm_hemm_kernelILb1ELb1ELi32E19rocblas_complex_numIdEPKPKS1_PKPS1_EvbiiT2_T3_lllSA_lllT4_llli.kd
    .uniform_work_group_size: 1
    .uses_dynamic_stack: false
    .vgpr_count:     43
    .vgpr_spill_count: 0
    .wavefront_size: 64
amdhsa.target:   amdgcn-amd-amdhsa--gfx906
amdhsa.version:
  - 1
  - 2
...

	.end_amdgpu_metadata
